;; amdgpu-corpus repo=ROCm/rocFFT kind=compiled arch=gfx1030 opt=O3
	.text
	.amdgcn_target "amdgcn-amd-amdhsa--gfx1030"
	.amdhsa_code_object_version 6
	.protected	bluestein_single_back_len975_dim1_dp_op_CI_CI ; -- Begin function bluestein_single_back_len975_dim1_dp_op_CI_CI
	.globl	bluestein_single_back_len975_dim1_dp_op_CI_CI
	.p2align	8
	.type	bluestein_single_back_len975_dim1_dp_op_CI_CI,@function
bluestein_single_back_len975_dim1_dp_op_CI_CI: ; @bluestein_single_back_len975_dim1_dp_op_CI_CI
; %bb.0:
	s_load_dwordx4 s[12:15], s[4:5], 0x28
	v_mul_u32_u24_e32 v1, 0x691, v0
	s_mov_b64 s[50:51], s[2:3]
	s_mov_b64 s[48:49], s[0:1]
	s_mov_b32 s0, exec_lo
	s_add_u32 s48, s48, s7
	v_lshrrev_b32_e32 v1, 16, v1
	s_addc_u32 s49, s49, 0
	v_mad_u64_u32 v[60:61], null, s6, 3, v[1:2]
	v_mov_b32_e32 v61, 0
	s_waitcnt lgkmcnt(0)
	v_cmpx_gt_u64_e64 s[12:13], v[60:61]
	s_cbranch_execz .LBB0_23
; %bb.1:
	s_clause 0x1
	s_load_dwordx4 s[8:11], s[4:5], 0x18
	s_load_dwordx2 s[6:7], s[4:5], 0x0
	v_mul_lo_u16 v1, v1, 39
	v_mul_hi_u32 v55, 0xaaaaaaab, v60
	v_mov_b32_e32 v61, v60
	s_mov_b32 s12, 0
	v_sub_nc_u16 v2, v0, v1
	v_lshrrev_b32_e32 v55, 1, v55
	v_and_b32_e32 v138, 0xffff, v2
	v_lshl_add_u32 v59, v55, 1, v55
	v_lshlrev_b32_e32 v132, 4, v138
	s_waitcnt lgkmcnt(0)
	s_load_dwordx4 s[0:3], s[8:9], 0x0
	s_clause 0x1
	global_load_dwordx4 v[75:78], v132, s[6:7]
	global_load_dwordx4 v[79:82], v132, s[6:7] offset:1200
	v_add_co_u32 v136, s8, s6, v132
	v_add_co_ci_u32_e64 v137, null, s7, 0, s8
	v_sub_nc_u32_e32 v63, v60, v59
	v_add_co_u32 v15, vcc_lo, 0x800, v136
	v_add_co_ci_u32_e32 v16, vcc_lo, 0, v137, vcc_lo
	v_add_co_u32 v13, vcc_lo, 0x1000, v136
	v_add_co_ci_u32_e32 v14, vcc_lo, 0, v137, vcc_lo
	global_load_dwordx4 v[147:150], v[15:16], off offset:352
	buffer_store_dword v15, off, s[48:51], 0 offset:68 ; 4-byte Folded Spill
	buffer_store_dword v16, off, s[48:51], 0 offset:72 ; 4-byte Folded Spill
	v_add_co_u32 v11, vcc_lo, 0x1800, v136
	v_add_co_ci_u32_e32 v12, vcc_lo, 0, v137, vcc_lo
	v_add_co_u32 v9, vcc_lo, 0x2000, v136
	v_add_co_ci_u32_e32 v10, vcc_lo, 0, v137, vcc_lo
	s_waitcnt lgkmcnt(0)
	v_mad_u64_u32 v[0:1], null, s2, v60, 0
	v_mad_u64_u32 v[3:4], null, s0, v138, 0
	v_add_co_u32 v53, vcc_lo, 0x2800, v136
	v_add_co_ci_u32_e32 v54, vcc_lo, 0, v137, vcc_lo
	v_mad_u64_u32 v[5:6], null, s3, v60, v[1:2]
	v_add_co_u32 v49, vcc_lo, 0x3000, v136
	v_add_co_ci_u32_e32 v50, vcc_lo, 0, v137, vcc_lo
	v_add_co_u32 v51, vcc_lo, 0x3800, v136
	v_mad_u64_u32 v[6:7], null, s1, v138, v[4:5]
	v_mov_b32_e32 v1, v5
	v_add_co_ci_u32_e32 v52, vcc_lo, 0, v137, vcc_lo
	s_mul_i32 s3, s1, 0x4b
	s_mul_hi_u32 s6, s0, 0x4b
	v_lshlrev_b64 v[0:1], 4, v[0:1]
	v_mov_b32_e32 v4, v6
	s_mul_i32 s2, s0, 0x4b
	s_add_i32 s3, s6, s3
	v_mul_u32_u24_e32 v133, 0x3cf, v63
	s_lshl_b64 s[2:3], s[2:3], 4
	v_lshlrev_b64 v[3:4], 4, v[3:4]
	v_add_co_u32 v0, vcc_lo, s14, v0
	v_add_co_ci_u32_e32 v1, vcc_lo, s15, v1, vcc_lo
	v_lshlrev_b32_e32 v131, 4, v133
	v_add_co_u32 v0, vcc_lo, v0, v3
	v_add_co_ci_u32_e32 v1, vcc_lo, v1, v4, vcc_lo
	s_clause 0x1
	global_load_dwordx4 v[143:146], v[15:16], off offset:1552
	global_load_dwordx4 v[139:142], v[13:14], off offset:704
	buffer_store_dword v13, off, s[48:51], 0 offset:60 ; 4-byte Folded Spill
	buffer_store_dword v14, off, s[48:51], 0 offset:64 ; 4-byte Folded Spill
	v_add_co_u32 v7, vcc_lo, v0, s2
	v_add_co_ci_u32_e32 v8, vcc_lo, s3, v1, vcc_lo
	global_load_dwordx4 v[111:114], v[13:14], off offset:1904
	buffer_store_dword v11, off, s[48:51], 0 offset:52 ; 4-byte Folded Spill
	buffer_store_dword v12, off, s[48:51], 0 offset:56 ; 4-byte Folded Spill
	s_clause 0x1
	global_load_dwordx4 v[115:118], v[11:12], off offset:1056
	global_load_dwordx4 v[107:110], v[9:10], off offset:208
	buffer_store_dword v9, off, s[48:51], 0 offset:28 ; 4-byte Folded Spill
	buffer_store_dword v10, off, s[48:51], 0 offset:32 ; 4-byte Folded Spill
	v_add_co_u32 v11, vcc_lo, v7, s2
	v_add_co_ci_u32_e32 v12, vcc_lo, s3, v8, vcc_lo
	s_clause 0x1
	global_load_dwordx4 v[103:106], v[9:10], off offset:1408
	global_load_dwordx4 v[99:102], v[53:54], off offset:560
	v_add_co_u32 v15, vcc_lo, v11, s2
	v_add_co_ci_u32_e32 v16, vcc_lo, s3, v12, vcc_lo
	s_clause 0x1
	global_load_dwordx4 v[3:6], v[0:1], off
	global_load_dwordx4 v[7:10], v[7:8], off
	v_add_co_u32 v0, vcc_lo, v15, s2
	v_add_co_ci_u32_e32 v1, vcc_lo, s3, v16, vcc_lo
	s_clause 0x1
	global_load_dwordx4 v[11:14], v[11:12], off
	global_load_dwordx4 v[15:18], v[15:16], off
	v_add_co_u32 v23, vcc_lo, v0, s2
	v_add_co_ci_u32_e32 v24, vcc_lo, s3, v1, vcc_lo
	global_load_dwordx4 v[19:22], v[0:1], off
	v_add_co_u32 v0, vcc_lo, v23, s2
	v_add_co_ci_u32_e32 v1, vcc_lo, s3, v24, vcc_lo
	;; [unrolled: 3-line block ×6, first 2 shown]
	global_load_dwordx4 v[39:42], v[39:40], off
	v_add_co_u32 v47, vcc_lo, v0, s2
	global_load_dwordx4 v[43:46], v[0:1], off
	buffer_store_dword v53, off, s[48:51], 0 offset:44 ; 4-byte Folded Spill
	buffer_store_dword v54, off, s[48:51], 0 offset:48 ; 4-byte Folded Spill
	v_add_co_ci_u32_e32 v48, vcc_lo, s3, v1, vcc_lo
	v_add_co_u32 v0, vcc_lo, v47, s2
	v_add_co_ci_u32_e32 v1, vcc_lo, s3, v48, vcc_lo
	v_cmp_gt_u16_e32 vcc_lo, 36, v2
	s_waitcnt vmcnt(10)
	v_mul_f64 v[55:56], v[5:6], v[77:78]
	s_waitcnt vmcnt(9)
	v_mul_f64 v[59:60], v[9:10], v[81:82]
	v_mul_f64 v[57:58], v[3:4], v[77:78]
	s_waitcnt vmcnt(8)
	v_mul_f64 v[63:64], v[13:14], v[149:150]
	s_waitcnt vmcnt(7)
	v_mul_f64 v[67:68], v[17:18], v[145:146]
	v_mul_f64 v[65:66], v[11:12], v[149:150]
	;; [unrolled: 1-line block ×3, first 2 shown]
	s_waitcnt vmcnt(6)
	v_mul_f64 v[71:72], v[21:22], v[141:142]
	v_mul_f64 v[73:74], v[19:20], v[141:142]
	v_fma_f64 v[3:4], v[3:4], v[75:76], v[55:56]
	s_waitcnt vmcnt(5)
	v_mul_f64 v[55:56], v[25:26], v[113:114]
	v_fma_f64 v[11:12], v[11:12], v[147:148], v[63:64]
	v_fma_f64 v[15:16], v[15:16], v[143:144], v[67:68]
	v_fma_f64 v[19:20], v[19:20], v[139:140], v[71:72]
	s_waitcnt vmcnt(1)
	v_mul_f64 v[83:84], v[41:42], v[101:102]
	v_mul_f64 v[85:86], v[39:40], v[101:102]
	global_load_dwordx4 v[123:126], v[53:54], off offset:1760
	buffer_store_dword v49, off, s[48:51], 0 offset:36 ; 4-byte Folded Spill
	buffer_store_dword v50, off, s[48:51], 0 offset:40 ; 4-byte Folded Spill
	global_load_dwordx4 v[119:122], v[49:50], off offset:912
	global_load_dwordx4 v[47:50], v[47:48], off
	buffer_store_dword v51, off, s[48:51], 0 ; 4-byte Folded Spill
	buffer_store_dword v52, off, s[48:51], 0 offset:4 ; 4-byte Folded Spill
	s_waitcnt vmcnt(2)
	v_mul_f64 v[87:88], v[45:46], v[125:126]
	v_fma_f64 v[39:40], v[39:40], v[99:100], v[83:84]
	v_mul_f64 v[89:90], v[43:44], v[125:126]
	global_load_dwordx4 v[127:130], v[51:52], off offset:64
	global_load_dwordx4 v[51:54], v[0:1], off
	buffer_store_dword v61, off, s[48:51], 0 offset:76 ; 4-byte Folded Spill
	buffer_store_dword v62, off, s[48:51], 0 offset:80 ; 4-byte Folded Spill
	v_mul_f64 v[61:62], v[7:8], v[81:82]
	buffer_store_dword v75, off, s[48:51], 0 offset:84 ; 4-byte Folded Spill
	buffer_store_dword v76, off, s[48:51], 0 offset:88 ; 4-byte Folded Spill
	;; [unrolled: 1-line block ×4, first 2 shown]
	v_fma_f64 v[7:8], v[7:8], v[79:80], v[59:60]
	buffer_store_dword v79, off, s[48:51], 0 offset:100 ; 4-byte Folded Spill
	buffer_store_dword v80, off, s[48:51], 0 offset:104 ; 4-byte Folded Spill
	;; [unrolled: 1-line block ×4, first 2 shown]
	v_mul_f64 v[59:60], v[29:30], v[117:118]
	s_waitcnt vmcnt(2)
	v_mul_f64 v[91:92], v[49:50], v[121:122]
	v_mul_f64 v[77:78], v[31:32], v[109:110]
	;; [unrolled: 1-line block ×3, first 2 shown]
	buffer_store_dword v147, off, s[48:51], 0 offset:276 ; 4-byte Folded Spill
	buffer_store_dword v148, off, s[48:51], 0 offset:280 ; 4-byte Folded Spill
	;; [unrolled: 1-line block ×12, first 2 shown]
	v_fma_f64 v[43:44], v[43:44], v[123:124], v[87:88]
	v_mul_f64 v[93:94], v[47:48], v[121:122]
	v_fma_f64 v[47:48], v[47:48], v[119:120], v[91:92]
	v_fma_f64 v[5:6], v[5:6], v[75:76], -v[57:58]
	v_mul_f64 v[75:76], v[33:34], v[109:110]
	v_fma_f64 v[9:10], v[9:10], v[79:80], -v[61:62]
	v_mul_f64 v[79:80], v[37:38], v[105:106]
	s_waitcnt vmcnt(0)
	v_mul_f64 v[95:96], v[53:54], v[129:130]
	v_mul_f64 v[57:58], v[23:24], v[113:114]
	;; [unrolled: 1-line block ×3, first 2 shown]
	v_fma_f64 v[23:24], v[23:24], v[111:112], v[55:56]
	buffer_store_dword v111, off, s[48:51], 0 offset:164 ; 4-byte Folded Spill
	buffer_store_dword v112, off, s[48:51], 0 offset:168 ; 4-byte Folded Spill
	buffer_store_dword v113, off, s[48:51], 0 offset:172 ; 4-byte Folded Spill
	buffer_store_dword v114, off, s[48:51], 0 offset:176 ; 4-byte Folded Spill
	v_fma_f64 v[27:28], v[27:28], v[115:116], v[59:60]
	buffer_store_dword v115, off, s[48:51], 0 offset:180 ; 4-byte Folded Spill
	buffer_store_dword v116, off, s[48:51], 0 offset:184 ; 4-byte Folded Spill
	;; [unrolled: 1-line block ×4, first 2 shown]
	v_mul_f64 v[97:98], v[51:52], v[129:130]
	v_fma_f64 v[13:14], v[13:14], v[147:148], -v[65:66]
	v_fma_f64 v[17:18], v[17:18], v[143:144], -v[69:70]
	;; [unrolled: 1-line block ×3, first 2 shown]
	v_add_nc_u32_e32 v143, v132, v131
	v_fma_f64 v[31:32], v[31:32], v[107:108], v[75:76]
	buffer_store_dword v107, off, s[48:51], 0 offset:148 ; 4-byte Folded Spill
	buffer_store_dword v108, off, s[48:51], 0 offset:152 ; 4-byte Folded Spill
	;; [unrolled: 1-line block ×4, first 2 shown]
	v_fma_f64 v[35:36], v[35:36], v[103:104], v[79:80]
	buffer_store_dword v103, off, s[48:51], 0 offset:132 ; 4-byte Folded Spill
	buffer_store_dword v104, off, s[48:51], 0 offset:136 ; 4-byte Folded Spill
	;; [unrolled: 1-line block ×16, first 2 shown]
	v_fma_f64 v[51:52], v[51:52], v[127:128], v[95:96]
	buffer_store_dword v127, off, s[48:51], 0 offset:228 ; 4-byte Folded Spill
	buffer_store_dword v128, off, s[48:51], 0 offset:232 ; 4-byte Folded Spill
	;; [unrolled: 1-line block ×4, first 2 shown]
	s_load_dwordx2 s[6:7], s[4:5], 0x38
	s_load_dwordx4 s[8:11], s[10:11], 0x0
	buffer_store_dword v131, off, s[48:51], 0 offset:8 ; 4-byte Folded Spill
	v_fma_f64 v[25:26], v[25:26], v[111:112], -v[57:58]
	v_fma_f64 v[29:30], v[29:30], v[115:116], -v[61:62]
	;; [unrolled: 1-line block ×7, first 2 shown]
	ds_write_b128 v143, v[3:6]
	ds_write_b128 v143, v[7:10] offset:1200
	ds_write_b128 v143, v[11:14] offset:2400
	;; [unrolled: 1-line block ×8, first 2 shown]
	v_fma_f64 v[53:54], v[53:54], v[127:128], -v[97:98]
	ds_write_b128 v143, v[39:42] offset:10800
	ds_write_b128 v143, v[43:46] offset:12000
	;; [unrolled: 1-line block ×4, first 2 shown]
	s_and_saveexec_b32 s13, vcc_lo
	s_cbranch_execz .LBB0_3
; %bb.2:
	v_mad_u64_u32 v[32:33], null, 0xffffca30, s0, v[0:1]
	s_clause 0x1
	global_load_dwordx4 v[0:3], v[136:137], off offset:624
	global_load_dwordx4 v[4:7], v[136:137], off offset:1824
	s_clause 0x1
	buffer_load_dword v8, off, s[48:51], 0 offset:68
	buffer_load_dword v9, off, s[48:51], 0 offset:72
	s_mulk_i32 s1, 0xca30
	s_sub_i32 s0, s1, s0
	v_add_nc_u32_e32 v33, s0, v33
	v_add_co_u32 v36, s0, v32, s2
	v_add_co_ci_u32_e64 v37, s0, s3, v33, s0
	v_add_co_u32 v40, s0, v36, s2
	v_add_co_ci_u32_e64 v41, s0, s3, v37, s0
	;; [unrolled: 2-line block ×12, first 2 shown]
	s_waitcnt vmcnt(0)
	global_load_dwordx4 v[8:11], v[8:9], off offset:976
	s_clause 0x1
	buffer_load_dword v16, off, s[48:51], 0 offset:60
	buffer_load_dword v17, off, s[48:51], 0 offset:64
	s_waitcnt vmcnt(0)
	s_clause 0x1
	global_load_dwordx4 v[12:15], v[16:17], off offset:128
	global_load_dwordx4 v[16:19], v[16:17], off offset:1328
	s_clause 0x1
	buffer_load_dword v24, off, s[48:51], 0 offset:52
	buffer_load_dword v25, off, s[48:51], 0 offset:56
	s_waitcnt vmcnt(0)
	s_clause 0x1
	global_load_dwordx4 v[20:23], v[24:25], off offset:480
	global_load_dwordx4 v[24:27], v[24:25], off offset:1680
	s_clause 0x1
	buffer_load_dword v74, off, s[48:51], 0 offset:28
	buffer_load_dword v75, off, s[48:51], 0 offset:32
	global_load_dwordx4 v[32:35], v[32:33], off
	global_load_dwordx4 v[36:39], v[36:37], off
	;; [unrolled: 1-line block ×5, first 2 shown]
	s_waitcnt vmcnt(5)
	global_load_dwordx4 v[28:31], v[74:75], off offset:832
	global_load_dwordx4 v[52:55], v[52:53], off
	global_load_dwordx4 v[56:59], v[56:57], off
	;; [unrolled: 1-line block ×5, first 2 shown]
	global_load_dwordx4 v[72:75], v[74:75], off offset:2032
	s_clause 0x1
	buffer_load_dword v76, off, s[48:51], 0 offset:44
	buffer_load_dword v77, off, s[48:51], 0 offset:48
	global_load_dwordx4 v[80:83], v[80:81], off
	s_waitcnt vmcnt(14)
	v_mul_f64 v[104:105], v[34:35], v[2:3]
	v_mul_f64 v[2:3], v[32:33], v[2:3]
	s_waitcnt vmcnt(13)
	v_mul_f64 v[106:107], v[38:39], v[6:7]
	v_mul_f64 v[6:7], v[36:37], v[6:7]
	;; [unrolled: 3-line block ×5, first 2 shown]
	v_fma_f64 v[32:33], v[32:33], v[0:1], v[104:105]
	v_fma_f64 v[34:35], v[34:35], v[0:1], -v[2:3]
	v_fma_f64 v[0:1], v[36:37], v[4:5], v[106:107]
	v_fma_f64 v[2:3], v[38:39], v[4:5], -v[6:7]
	v_fma_f64 v[4:5], v[40:41], v[8:9], v[108:109]
	v_fma_f64 v[6:7], v[42:43], v[8:9], -v[10:11]
	v_fma_f64 v[8:9], v[44:45], v[12:13], v[110:111]
	v_fma_f64 v[10:11], v[46:47], v[12:13], -v[14:15]
	v_fma_f64 v[12:13], v[48:49], v[16:17], v[112:113]
	v_fma_f64 v[14:15], v[50:51], v[16:17], -v[18:19]
	s_waitcnt vmcnt(8)
	v_mul_f64 v[104:105], v[54:55], v[22:23]
	v_mul_f64 v[22:23], v[52:53], v[22:23]
	s_waitcnt vmcnt(7)
	v_mul_f64 v[36:37], v[58:59], v[26:27]
	v_mul_f64 v[26:27], v[56:57], v[26:27]
	;; [unrolled: 3-line block ×3, first 2 shown]
	s_waitcnt vmcnt(1)
	global_load_dwordx4 v[76:79], v[76:77], off offset:1184
	s_clause 0x1
	buffer_load_dword v92, off, s[48:51], 0 offset:36
	buffer_load_dword v93, off, s[48:51], 0 offset:40
	v_mul_f64 v[106:107], v[66:67], v[74:75]
	v_mul_f64 v[74:75], v[64:65], v[74:75]
	s_waitcnt vmcnt(0)
	global_load_dwordx4 v[84:87], v[92:93], off offset:336
	global_load_dwordx4 v[88:91], v[88:89], off
	global_load_dwordx4 v[92:95], v[92:93], off offset:1536
	s_clause 0x1
	buffer_load_dword v96, off, s[48:51], 0
	buffer_load_dword v97, off, s[48:51], 0 offset:4
	v_mul_f64 v[114:115], v[70:71], v[78:79]
	v_mul_f64 v[78:79], v[68:69], v[78:79]
	v_fma_f64 v[16:17], v[52:53], v[20:21], v[104:105]
	v_fma_f64 v[18:19], v[54:55], v[20:21], -v[22:23]
	v_fma_f64 v[20:21], v[56:57], v[24:25], v[36:37]
	v_fma_f64 v[22:23], v[58:59], v[24:25], -v[26:27]
	;; [unrolled: 2-line block ×4, first 2 shown]
	s_waitcnt vmcnt(0)
	global_load_dwordx4 v[96:99], v[96:97], off offset:688
	global_load_dwordx4 v[100:103], v[100:101], off
	v_mul_f64 v[116:117], v[82:83], v[86:87]
	v_mul_f64 v[86:87], v[80:81], v[86:87]
	;; [unrolled: 1-line block ×4, first 2 shown]
	v_fma_f64 v[36:37], v[68:69], v[76:77], v[114:115]
	v_fma_f64 v[38:39], v[70:71], v[76:77], -v[78:79]
	v_fma_f64 v[40:41], v[80:81], v[84:85], v[116:117]
	v_fma_f64 v[42:43], v[82:83], v[84:85], -v[86:87]
	;; [unrolled: 2-line block ×3, first 2 shown]
	s_waitcnt vmcnt(0)
	v_mul_f64 v[120:121], v[102:103], v[98:99]
	v_mul_f64 v[98:99], v[100:101], v[98:99]
	v_fma_f64 v[48:49], v[100:101], v[96:97], v[120:121]
	v_fma_f64 v[50:51], v[102:103], v[96:97], -v[98:99]
	ds_write_b128 v143, v[32:35] offset:624
	ds_write_b128 v143, v[0:3] offset:1824
	;; [unrolled: 1-line block ×13, first 2 shown]
.LBB0_3:
	s_or_b32 exec_lo, exec_lo, s13
	s_waitcnt lgkmcnt(0)
	s_waitcnt_vscnt null, 0x0
	s_barrier
	buffer_gl0_inv
	ds_read_b128 v[32:35], v143
	ds_read_b128 v[56:59], v143 offset:1200
	ds_read_b128 v[64:67], v143 offset:2400
	;; [unrolled: 1-line block ×12, first 2 shown]
	s_load_dwordx2 s[2:3], s[4:5], 0x8
	v_mov_b32_e32 v139, s12
                                        ; implicit-def: $vgpr4_vgpr5
                                        ; implicit-def: $vgpr52_vgpr53
                                        ; implicit-def: $vgpr48_vgpr49
                                        ; implicit-def: $vgpr44_vgpr45
                                        ; implicit-def: $vgpr40_vgpr41
                                        ; implicit-def: $vgpr36_vgpr37
                                        ; implicit-def: $vgpr28_vgpr29
                                        ; implicit-def: $vgpr24_vgpr25
                                        ; implicit-def: $vgpr20_vgpr21
                                        ; implicit-def: $vgpr16_vgpr17
                                        ; implicit-def: $vgpr12_vgpr13
                                        ; implicit-def: $vgpr8_vgpr9
                                        ; implicit-def: $vgpr0_vgpr1
	s_and_saveexec_b32 s0, vcc_lo
	s_cbranch_execz .LBB0_5
; %bb.4:
	ds_read_b128 v[4:7], v143 offset:624
	ds_read_b128 v[52:55], v143 offset:1824
	;; [unrolled: 1-line block ×13, first 2 shown]
.LBB0_5:
	s_or_b32 exec_lo, exec_lo, s0
	s_waitcnt lgkmcnt(0)
	v_add_f64 v[104:105], v[32:33], v[56:57]
	v_add_f64 v[106:107], v[34:35], v[58:59]
	s_mov_b32 s0, 0x4267c47c
	s_mov_b32 s14, 0x42a4c3d2
	;; [unrolled: 1-line block ×12, first 2 shown]
	v_add_f64 v[112:113], v[58:59], v[62:63]
	v_add_f64 v[114:115], v[56:57], -v[60:61]
	s_mov_b32 s4, 0xe00740e9
	s_mov_b32 s20, 0x1ea71119
	;; [unrolled: 1-line block ×6, first 2 shown]
	v_add_f64 v[104:105], v[104:105], v[64:65]
	v_add_f64 v[106:107], v[106:107], v[66:67]
	s_mov_b32 s5, 0x3fec55a7
	s_mov_b32 s21, 0x3fe22d96
	;; [unrolled: 1-line block ×13, first 2 shown]
	v_mul_f64 v[130:131], v[114:115], s[14:15]
	v_mul_f64 v[134:135], v[114:115], s[22:23]
	;; [unrolled: 1-line block ×4, first 2 shown]
	s_mov_b32 s40, s18
	s_mov_b32 s45, 0x3fcea1e5
	;; [unrolled: 1-line block ×3, first 2 shown]
	v_add_f64 v[104:105], v[104:105], v[92:93]
	v_add_f64 v[106:107], v[106:107], v[94:95]
	s_mov_b32 s43, 0x3fea55e2
	s_mov_b32 s42, s14
	v_lshlrev_b32_e32 v142, 4, v133
	s_barrier
	buffer_gl0_inv
	v_fma_f64 v[148:149], v[112:113], s[20:21], v[130:131]
	v_fma_f64 v[130:131], v[112:113], s[20:21], -v[130:131]
	v_fma_f64 v[150:151], v[112:113], s[26:27], v[134:135]
	v_fma_f64 v[134:135], v[112:113], s[26:27], -v[134:135]
	;; [unrolled: 2-line block ×3, first 2 shown]
	v_fma_f64 v[154:155], v[112:113], s[12:13], v[144:145]
	v_add_f64 v[104:105], v[104:105], v[88:89]
	v_add_f64 v[106:107], v[106:107], v[90:91]
	v_fma_f64 v[144:145], v[112:113], s[12:13], -v[144:145]
	v_add_f64 v[158:159], v[34:35], v[148:149]
	v_add_f64 v[130:131], v[34:35], v[130:131]
	;; [unrolled: 1-line block ×22, first 2 shown]
	v_add_f64 v[100:101], v[92:93], -v[100:101]
	v_add_f64 v[102:103], v[94:95], -v[102:103]
	v_add_f64 v[92:93], v[88:89], v[96:97]
	v_add_f64 v[94:95], v[90:91], v[98:99]
	v_add_f64 v[88:89], v[88:89], -v[96:97]
	v_add_f64 v[90:91], v[90:91], -v[98:99]
	;; [unrolled: 1-line block ×4, first 2 shown]
	v_add_f64 v[80:81], v[80:81], v[84:85]
	v_add_f64 v[82:83], v[82:83], v[86:87]
	v_add_f64 v[84:85], v[74:75], -v[78:79]
	v_add_f64 v[86:87], v[72:73], -v[76:77]
	v_add_f64 v[72:73], v[72:73], v[76:77]
	v_add_f64 v[74:75], v[74:75], v[78:79]
	;; [unrolled: 1-line block ×4, first 2 shown]
	v_add_f64 v[64:65], v[64:65], -v[68:69]
	v_add_f64 v[66:67], v[66:67], -v[70:71]
	v_add_f64 v[68:69], v[108:109], v[68:69]
	v_add_f64 v[70:71], v[110:111], v[70:71]
	v_add_f64 v[108:109], v[58:59], -v[62:63]
	v_add_f64 v[110:111], v[56:57], v[60:61]
	v_mul_f64 v[150:151], v[100:101], s[22:23]
	v_mul_f64 v[148:149], v[102:103], s[22:23]
	;; [unrolled: 1-line block ×18, first 2 shown]
	v_add_f64 v[56:57], v[68:69], v[60:61]
	v_add_f64 v[58:59], v[70:71], v[62:63]
	v_mul_f64 v[60:61], v[108:109], s[0:1]
	v_mul_f64 v[62:63], v[108:109], s[14:15]
	;; [unrolled: 1-line block ×11, first 2 shown]
	v_fma_f64 v[118:119], v[110:111], s[4:5], -v[60:61]
	v_fma_f64 v[60:61], v[110:111], s[4:5], v[60:61]
	v_fma_f64 v[120:121], v[110:111], s[20:21], -v[62:63]
	v_fma_f64 v[62:63], v[110:111], s[20:21], v[62:63]
	;; [unrolled: 2-line block ×6, first 2 shown]
	v_mul_f64 v[110:111], v[114:115], s[0:1]
	v_mul_f64 v[114:115], v[114:115], s[30:31]
	v_add_f64 v[60:61], v[32:33], v[60:61]
	v_add_f64 v[120:121], v[32:33], v[120:121]
	;; [unrolled: 1-line block ×10, first 2 shown]
	v_fma_f64 v[146:147], v[112:113], s[4:5], v[110:111]
	v_fma_f64 v[110:111], v[112:113], s[4:5], -v[110:111]
	v_fma_f64 v[156:157], v[112:113], s[28:29], v[114:115]
	v_fma_f64 v[112:113], v[112:113], s[28:29], -v[114:115]
	v_add_f64 v[114:115], v[32:33], v[118:119]
	v_add_f64 v[32:33], v[32:33], v[108:109]
	v_mul_f64 v[108:109], v[66:67], s[14:15]
	v_add_f64 v[118:119], v[34:35], v[146:147]
	v_add_f64 v[110:111], v[34:35], v[110:111]
	;; [unrolled: 1-line block ×4, first 2 shown]
	v_mul_f64 v[156:157], v[88:89], s[18:19]
	v_fma_f64 v[112:113], v[76:77], s[20:21], -v[108:109]
	v_fma_f64 v[108:109], v[76:77], s[20:21], v[108:109]
	v_add_f64 v[112:113], v[112:113], v[114:115]
	v_mul_f64 v[114:115], v[64:65], s[14:15]
	v_add_f64 v[60:61], v[108:109], v[60:61]
	v_fma_f64 v[144:145], v[78:79], s[20:21], v[114:115]
	v_fma_f64 v[108:109], v[78:79], s[20:21], -v[114:115]
	v_mul_f64 v[114:115], v[102:103], s[30:31]
	v_add_f64 v[118:119], v[144:145], v[118:119]
	v_fma_f64 v[144:145], v[104:105], s[26:27], -v[148:149]
	v_add_f64 v[108:109], v[108:109], v[110:111]
	v_fma_f64 v[110:111], v[104:105], s[26:27], v[148:149]
	v_add_f64 v[112:113], v[144:145], v[112:113]
	v_fma_f64 v[144:145], v[106:107], s[26:27], v[150:151]
	v_add_f64 v[60:61], v[110:111], v[60:61]
	v_fma_f64 v[110:111], v[106:107], s[26:27], -v[150:151]
	v_add_f64 v[118:119], v[144:145], v[118:119]
	v_fma_f64 v[144:145], v[92:93], s[24:25], -v[154:155]
	v_add_f64 v[108:109], v[110:111], v[108:109]
	v_fma_f64 v[110:111], v[92:93], s[24:25], v[154:155]
	v_add_f64 v[112:113], v[144:145], v[112:113]
	v_fma_f64 v[144:145], v[94:95], s[24:25], v[156:157]
	v_add_f64 v[60:61], v[110:111], v[60:61]
	v_fma_f64 v[110:111], v[94:95], s[24:25], -v[156:157]
	v_add_f64 v[118:119], v[144:145], v[118:119]
	v_fma_f64 v[144:145], v[80:81], s[12:13], -v[160:161]
	v_add_f64 v[108:109], v[110:111], v[108:109]
	v_fma_f64 v[110:111], v[80:81], s[12:13], v[160:161]
	v_mul_f64 v[161:162], v[98:99], s[38:39]
	v_add_f64 v[112:113], v[144:145], v[112:113]
	v_fma_f64 v[144:145], v[82:83], s[12:13], v[165:166]
	v_add_f64 v[60:61], v[110:111], v[60:61]
	v_fma_f64 v[110:111], v[82:83], s[12:13], -v[165:166]
	v_mul_f64 v[165:166], v[96:97], s[38:39]
	v_add_f64 v[118:119], v[144:145], v[118:119]
	v_fma_f64 v[144:145], v[72:73], s[28:29], -v[167:168]
	v_add_f64 v[108:109], v[110:111], v[108:109]
	v_fma_f64 v[110:111], v[72:73], s[28:29], v[167:168]
	v_mul_f64 v[167:168], v[84:85], s[36:37]
	v_mul_f64 v[84:85], v[84:85], s[38:39]
	v_add_f64 v[144:145], v[144:145], v[112:113]
	v_mul_f64 v[112:113], v[86:87], s[30:31]
	v_add_f64 v[148:149], v[110:111], v[60:61]
	v_mul_f64 v[60:61], v[66:67], s[18:19]
	v_mul_f64 v[110:111], v[64:65], s[18:19]
	v_fma_f64 v[146:147], v[74:75], s[28:29], v[112:113]
	v_fma_f64 v[112:113], v[74:75], s[28:29], -v[112:113]
	v_add_f64 v[146:147], v[146:147], v[118:119]
	v_add_f64 v[150:151], v[112:113], v[108:109]
	v_fma_f64 v[108:109], v[76:77], s[24:25], -v[60:61]
	v_fma_f64 v[118:119], v[104:105], s[28:29], -v[114:115]
	v_fma_f64 v[112:113], v[78:79], s[24:25], v[110:111]
	v_fma_f64 v[60:61], v[76:77], s[24:25], v[60:61]
	v_add_f64 v[108:109], v[108:109], v[120:121]
	v_add_f64 v[112:113], v[112:113], v[158:159]
	;; [unrolled: 1-line block ×3, first 2 shown]
	v_fma_f64 v[62:63], v[78:79], s[24:25], -v[110:111]
	v_fma_f64 v[110:111], v[104:105], s[28:29], v[114:115]
	v_mul_f64 v[159:160], v[88:89], s[34:35]
	v_add_f64 v[108:109], v[118:119], v[108:109]
	v_mul_f64 v[118:119], v[100:101], s[30:31]
	v_add_f64 v[62:63], v[62:63], v[130:131]
	v_add_f64 v[60:61], v[110:111], v[60:61]
	v_fma_f64 v[120:121], v[106:107], s[28:29], v[118:119]
	v_fma_f64 v[110:111], v[106:107], s[28:29], -v[118:119]
	v_add_f64 v[112:113], v[120:121], v[112:113]
	v_mul_f64 v[120:121], v[90:91], s[34:35]
	v_add_f64 v[62:63], v[110:111], v[62:63]
	v_fma_f64 v[154:155], v[92:93], s[12:13], -v[120:121]
	v_fma_f64 v[110:111], v[92:93], s[12:13], v[120:121]
	v_add_f64 v[108:109], v[154:155], v[108:109]
	v_fma_f64 v[154:155], v[94:95], s[12:13], v[159:160]
	v_add_f64 v[60:61], v[110:111], v[60:61]
	v_fma_f64 v[110:111], v[94:95], s[12:13], -v[159:160]
	v_add_f64 v[112:113], v[154:155], v[112:113]
	v_fma_f64 v[154:155], v[80:81], s[26:27], -v[161:162]
	v_add_f64 v[62:63], v[110:111], v[62:63]
	v_fma_f64 v[110:111], v[80:81], s[26:27], v[161:162]
	v_add_f64 v[108:109], v[154:155], v[108:109]
	v_fma_f64 v[154:155], v[82:83], s[26:27], v[165:166]
	v_add_f64 v[60:61], v[110:111], v[60:61]
	v_fma_f64 v[110:111], v[82:83], s[26:27], -v[165:166]
	v_add_f64 v[112:113], v[154:155], v[112:113]
	v_fma_f64 v[154:155], v[72:73], s[4:5], -v[167:168]
	v_add_f64 v[62:63], v[110:111], v[62:63]
	v_fma_f64 v[110:111], v[72:73], s[4:5], v[167:168]
	v_add_f64 v[155:156], v[154:155], v[108:109]
	v_mul_f64 v[108:109], v[86:87], s[36:37]
	v_add_f64 v[159:160], v[110:111], v[60:61]
	v_mul_f64 v[60:61], v[66:67], s[30:31]
	v_fma_f64 v[157:158], v[74:75], s[4:5], v[108:109]
	v_fma_f64 v[108:109], v[74:75], s[4:5], -v[108:109]
	v_add_f64 v[157:158], v[157:158], v[112:113]
	v_add_f64 v[161:162], v[108:109], v[62:63]
	v_fma_f64 v[62:63], v[76:77], s[28:29], -v[60:61]
	v_mul_f64 v[112:113], v[102:103], s[40:41]
	v_mul_f64 v[108:109], v[64:65], s[30:31]
	;; [unrolled: 1-line block ×4, first 2 shown]
	v_add_f64 v[62:63], v[62:63], v[122:123]
	v_fma_f64 v[114:115], v[104:105], s[24:25], -v[112:113]
	v_fma_f64 v[110:111], v[78:79], s[28:29], v[108:109]
	v_add_f64 v[62:63], v[114:115], v[62:63]
	v_mul_f64 v[114:115], v[100:101], s[40:41]
	v_add_f64 v[110:111], v[110:111], v[163:164]
	v_mul_f64 v[100:101], v[100:101], s[16:17]
	v_fma_f64 v[118:119], v[106:107], s[24:25], v[114:115]
	v_add_f64 v[110:111], v[118:119], v[110:111]
	v_mul_f64 v[118:119], v[90:91], s[36:37]
	v_mul_f64 v[90:91], v[90:91], s[42:43]
	v_fma_f64 v[120:121], v[92:93], s[4:5], -v[118:119]
	v_add_f64 v[62:63], v[120:121], v[62:63]
	v_mul_f64 v[120:121], v[88:89], s[36:37]
	v_mul_f64 v[88:89], v[88:89], s[42:43]
	v_fma_f64 v[122:123], v[94:95], s[4:5], v[120:121]
	v_add_f64 v[110:111], v[122:123], v[110:111]
	v_mul_f64 v[122:123], v[98:99], s[14:15]
	v_mul_f64 v[98:99], v[98:99], s[18:19]
	v_fma_f64 v[130:131], v[80:81], s[20:21], -v[122:123]
	v_add_f64 v[62:63], v[130:131], v[62:63]
	v_mul_f64 v[130:131], v[96:97], s[14:15]
	v_mul_f64 v[96:97], v[96:97], s[18:19]
	v_fma_f64 v[163:164], v[82:83], s[20:21], v[130:131]
	v_add_f64 v[110:111], v[163:164], v[110:111]
	v_fma_f64 v[163:164], v[72:73], s[12:13], -v[191:192]
	v_add_f64 v[163:164], v[163:164], v[62:63]
	v_mul_f64 v[62:63], v[86:87], s[16:17]
	v_fma_f64 v[165:166], v[74:75], s[12:13], v[62:63]
	v_fma_f64 v[62:63], v[74:75], s[12:13], -v[62:63]
	v_add_f64 v[165:166], v[165:166], v[110:111]
	v_mul_f64 v[110:111], v[66:67], s[34:35]
	v_fma_f64 v[167:168], v[76:77], s[12:13], -v[110:111]
	v_add_f64 v[124:125], v[167:168], v[124:125]
	v_fma_f64 v[167:168], v[78:79], s[12:13], v[187:188]
	v_add_f64 v[152:153], v[167:168], v[152:153]
	v_fma_f64 v[167:168], v[104:105], s[4:5], -v[189:190]
	v_add_f64 v[124:125], v[167:168], v[124:125]
	v_fma_f64 v[167:168], v[106:107], s[4:5], v[193:194]
	v_add_f64 v[152:153], v[167:168], v[152:153]
	;; [unrolled: 4-line block ×4, first 2 shown]
	v_fma_f64 v[167:168], v[72:73], s[20:21], -v[203:204]
	v_add_f64 v[167:168], v[167:168], v[124:125]
	v_mul_f64 v[124:125], v[86:87], s[42:43]
	v_fma_f64 v[169:170], v[74:75], s[20:21], v[124:125]
	v_add_f64 v[169:170], v[169:170], v[152:153]
	v_mul_f64 v[152:153], v[66:67], s[38:39]
	v_mul_f64 v[66:67], v[66:67], s[36:37]
	v_fma_f64 v[173:174], v[76:77], s[26:27], -v[152:153]
	v_add_f64 v[126:127], v[173:174], v[126:127]
	v_fma_f64 v[173:174], v[78:79], s[26:27], v[185:186]
	v_add_f64 v[171:172], v[173:174], v[171:172]
	v_fma_f64 v[173:174], v[104:105], s[20:21], -v[205:206]
	v_add_f64 v[126:127], v[173:174], v[126:127]
	v_fma_f64 v[173:174], v[106:107], s[20:21], v[207:208]
	v_add_f64 v[171:172], v[173:174], v[171:172]
	v_fma_f64 v[173:174], v[92:93], s[28:29], -v[209:210]
	v_add_f64 v[126:127], v[173:174], v[126:127]
	v_fma_f64 v[173:174], v[94:95], s[28:29], v[211:212]
	v_add_f64 v[171:172], v[173:174], v[171:172]
	v_fma_f64 v[173:174], v[80:81], s[4:5], -v[213:214]
	v_add_f64 v[126:127], v[173:174], v[126:127]
	v_fma_f64 v[173:174], v[82:83], s[4:5], v[215:216]
	v_add_f64 v[173:174], v[173:174], v[171:172]
	v_fma_f64 v[171:172], v[72:73], s[24:25], -v[217:218]
	v_add_f64 v[171:172], v[171:172], v[126:127]
	v_mul_f64 v[126:127], v[86:87], s[18:19]
	v_mul_f64 v[86:87], v[86:87], s[38:39]
	v_fma_f64 v[177:178], v[74:75], s[24:25], v[126:127]
	v_add_f64 v[173:174], v[177:178], v[173:174]
	v_fma_f64 v[177:178], v[76:77], s[4:5], -v[66:67]
	v_fma_f64 v[66:67], v[76:77], s[4:5], v[66:67]
	v_add_f64 v[128:129], v[177:178], v[128:129]
	v_fma_f64 v[177:178], v[78:79], s[4:5], v[64:65]
	v_fma_f64 v[64:65], v[78:79], s[4:5], -v[64:65]
	v_add_f64 v[32:33], v[66:67], v[32:33]
	v_fma_f64 v[66:67], v[74:75], s[26:27], -v[86:87]
	v_add_f64 v[175:176], v[177:178], v[175:176]
	v_add_f64 v[34:35], v[64:65], v[34:35]
	v_fma_f64 v[64:65], v[104:105], s[12:13], v[102:103]
	v_fma_f64 v[177:178], v[104:105], s[12:13], -v[102:103]
	v_add_f64 v[102:103], v[44:45], -v[12:13]
	v_add_f64 v[32:33], v[64:65], v[32:33]
	v_fma_f64 v[64:65], v[106:107], s[12:13], -v[100:101]
	v_add_f64 v[128:129], v[177:178], v[128:129]
	v_fma_f64 v[177:178], v[106:107], s[12:13], v[100:101]
	v_add_f64 v[100:101], v[50:51], -v[10:11]
	v_add_f64 v[34:35], v[64:65], v[34:35]
	v_fma_f64 v[64:65], v[92:93], s[20:21], v[90:91]
	v_add_f64 v[175:176], v[177:178], v[175:176]
	v_fma_f64 v[177:178], v[92:93], s[20:21], -v[90:91]
	v_add_f64 v[90:91], v[44:45], v[12:13]
	v_add_f64 v[32:33], v[64:65], v[32:33]
	v_fma_f64 v[64:65], v[94:95], s[20:21], -v[88:89]
	v_add_f64 v[128:129], v[177:178], v[128:129]
	v_fma_f64 v[177:178], v[94:95], s[20:21], v[88:89]
	v_add_f64 v[88:89], v[38:39], v[22:23]
	v_add_f64 v[34:35], v[64:65], v[34:35]
	v_fma_f64 v[64:65], v[80:81], s[24:25], v[98:99]
	v_add_f64 v[175:176], v[177:178], v[175:176]
	v_fma_f64 v[177:178], v[80:81], s[24:25], -v[98:99]
	v_add_f64 v[98:99], v[42:43], v[18:19]
	v_add_f64 v[32:33], v[64:65], v[32:33]
	v_fma_f64 v[64:65], v[82:83], s[24:25], -v[96:97]
	v_add_f64 v[128:129], v[177:178], v[128:129]
	v_fma_f64 v[177:178], v[82:83], s[24:25], v[96:97]
	v_add_f64 v[96:97], v[48:49], v[8:9]
	v_add_f64 v[34:35], v[64:65], v[34:35]
	v_fma_f64 v[64:65], v[72:73], s[26:27], v[84:85]
	v_add_f64 v[177:178], v[177:178], v[175:176]
	v_fma_f64 v[175:176], v[72:73], s[26:27], -v[84:85]
	v_add_f64 v[181:182], v[66:67], v[34:35]
	v_add_f64 v[179:180], v[64:65], v[32:33]
	v_fma_f64 v[32:33], v[76:77], s[26:27], v[152:153]
	v_fma_f64 v[34:35], v[78:79], s[26:27], -v[185:186]
	v_fma_f64 v[64:65], v[104:105], s[20:21], v[205:206]
	v_fma_f64 v[66:67], v[74:75], s[24:25], -v[126:127]
	v_add_f64 v[175:176], v[175:176], v[128:129]
	v_fma_f64 v[128:129], v[74:75], s[26:27], v[86:87]
	v_add_f64 v[126:127], v[52:53], -v[0:1]
	v_add_f64 v[86:87], v[42:43], -v[18:19]
	v_add_f64 v[32:33], v[32:33], v[116:117]
	v_add_f64 v[34:35], v[34:35], v[183:184]
	;; [unrolled: 1-line block ×4, first 2 shown]
	v_mul_f64 v[128:129], v[126:127], s[0:1]
	v_add_f64 v[32:33], v[64:65], v[32:33]
	v_fma_f64 v[64:65], v[106:107], s[20:21], -v[207:208]
	v_add_f64 v[34:35], v[64:65], v[34:35]
	v_fma_f64 v[64:65], v[92:93], s[28:29], v[209:210]
	v_add_f64 v[32:33], v[64:65], v[32:33]
	v_fma_f64 v[64:65], v[94:95], s[28:29], -v[211:212]
	v_add_f64 v[34:35], v[64:65], v[34:35]
	v_fma_f64 v[64:65], v[80:81], s[4:5], v[213:214]
	;; [unrolled: 4-line block ×3, first 2 shown]
	v_add_f64 v[185:186], v[66:67], v[34:35]
	v_add_f64 v[183:184], v[64:65], v[32:33]
	v_fma_f64 v[32:33], v[76:77], s[12:13], v[110:111]
	v_fma_f64 v[34:35], v[78:79], s[12:13], -v[187:188]
	v_fma_f64 v[64:65], v[104:105], s[4:5], v[189:190]
	v_fma_f64 v[66:67], v[74:75], s[20:21], -v[124:125]
	v_mul_f64 v[110:111], v[102:103], s[22:23]
	v_add_f64 v[32:33], v[32:33], v[70:71]
	v_add_f64 v[34:35], v[34:35], v[140:141]
	v_add_f64 v[70:71], v[36:37], -v[20:21]
	v_add_f64 v[32:33], v[64:65], v[32:33]
	v_fma_f64 v[64:65], v[106:107], s[4:5], -v[193:194]
	v_mul_f64 v[84:85], v[70:71], s[16:17]
	v_add_f64 v[34:35], v[64:65], v[34:35]
	v_fma_f64 v[64:65], v[92:93], s[26:27], v[195:196]
	v_add_f64 v[32:33], v[64:65], v[32:33]
	v_fma_f64 v[64:65], v[94:95], s[26:27], -v[197:198]
	v_add_f64 v[34:35], v[64:65], v[34:35]
	v_fma_f64 v[64:65], v[80:81], s[28:29], v[199:200]
	v_add_f64 v[32:33], v[64:65], v[32:33]
	v_fma_f64 v[64:65], v[82:83], s[28:29], -v[201:202]
	v_add_f64 v[34:35], v[64:65], v[34:35]
	v_fma_f64 v[64:65], v[72:73], s[20:21], v[203:204]
	v_add_f64 v[189:190], v[66:67], v[34:35]
	v_add_f64 v[187:188], v[64:65], v[32:33]
	v_fma_f64 v[32:33], v[76:77], s[28:29], v[60:61]
	v_fma_f64 v[34:35], v[78:79], s[28:29], -v[108:109]
	v_fma_f64 v[60:61], v[104:105], s[24:25], v[112:113]
	v_fma_f64 v[64:65], v[106:107], s[24:25], -v[114:115]
	v_mul_f64 v[114:115], v[100:101], s[14:15]
	v_add_f64 v[112:113], v[48:49], -v[8:9]
	v_add_f64 v[106:107], v[46:47], v[14:15]
	v_add_f64 v[76:77], v[40:41], v[16:17]
	v_add_f64 v[78:79], v[38:39], -v[22:23]
	v_add_f64 v[66:67], v[36:37], v[20:21]
	v_add_f64 v[32:33], v[32:33], v[68:69]
	;; [unrolled: 1-line block ×3, first 2 shown]
	v_mul_f64 v[74:75], v[78:79], s[16:17]
	v_add_f64 v[32:33], v[60:61], v[32:33]
	v_fma_f64 v[60:61], v[92:93], s[4:5], v[118:119]
	v_add_f64 v[34:35], v[64:65], v[34:35]
	v_fma_f64 v[64:65], v[94:95], s[4:5], -v[120:121]
	v_add_f64 v[120:121], v[52:53], v[0:1]
	v_mul_f64 v[118:119], v[112:113], s[14:15]
	v_add_f64 v[94:95], v[46:47], -v[14:15]
	v_mul_f64 v[92:93], v[86:87], s[18:19]
	v_add_f64 v[32:33], v[60:61], v[32:33]
	v_fma_f64 v[60:61], v[80:81], s[20:21], v[122:123]
	v_add_f64 v[122:123], v[54:55], -v[2:3]
	v_add_f64 v[34:35], v[64:65], v[34:35]
	v_fma_f64 v[64:65], v[82:83], s[20:21], -v[130:131]
	v_add_f64 v[130:131], v[54:55], v[2:3]
	v_mul_f64 v[108:109], v[94:95], s[22:23]
	v_add_f64 v[82:83], v[40:41], -v[16:17]
	v_add_f64 v[80:81], v[30:31], v[26:27]
	v_add_f64 v[32:33], v[60:61], v[32:33]
	v_fma_f64 v[60:61], v[72:73], s[12:13], v[191:192]
	v_mul_f64 v[124:125], v[122:123], s[0:1]
	v_add_f64 v[34:35], v[64:65], v[34:35]
	v_add_f64 v[72:73], v[30:31], -v[26:27]
	v_mul_f64 v[104:105], v[82:83], s[18:19]
	v_add_f64 v[191:192], v[60:61], v[32:33]
	v_fma_f64 v[32:33], v[120:121], s[4:5], v[124:125]
	v_add_f64 v[193:194], v[62:63], v[34:35]
	v_fma_f64 v[34:35], v[96:97], s[20:21], v[114:115]
	v_fma_f64 v[60:61], v[116:117], s[20:21], -v[118:119]
	v_mul_f64 v[64:65], v[72:73], s[30:31]
	v_add_f64 v[32:33], v[4:5], v[32:33]
	v_add_f64 v[32:33], v[34:35], v[32:33]
	v_fma_f64 v[34:35], v[130:131], s[4:5], -v[128:129]
	v_add_f64 v[34:35], v[6:7], v[34:35]
	v_add_f64 v[34:35], v[60:61], v[34:35]
	v_fma_f64 v[60:61], v[90:91], s[26:27], v[108:109]
	v_add_f64 v[32:33], v[60:61], v[32:33]
	v_fma_f64 v[60:61], v[106:107], s[26:27], -v[110:111]
	v_add_f64 v[34:35], v[60:61], v[34:35]
	v_fma_f64 v[60:61], v[76:77], s[24:25], v[92:93]
	v_add_f64 v[32:33], v[60:61], v[32:33]
	v_fma_f64 v[60:61], v[98:99], s[24:25], -v[104:105]
	;; [unrolled: 4-line block ×3, first 2 shown]
	v_add_f64 v[34:35], v[60:61], v[34:35]
	v_add_f64 v[60:61], v[28:29], v[24:25]
	v_fma_f64 v[62:63], v[60:61], s[28:29], v[64:65]
	v_add_f64 v[32:33], v[62:63], v[32:33]
	v_add_f64 v[62:63], v[28:29], -v[24:25]
	v_mul_f64 v[68:69], v[62:63], s[30:31]
	v_fma_f64 v[134:135], v[80:81], s[28:29], -v[68:69]
	v_add_f64 v[34:35], v[134:135], v[34:35]
	v_mul_lo_u16 v134, v138, 13
	v_and_b32_e32 v134, 0xffff, v134
	v_lshl_add_u32 v154, v134, 4, v142
	v_add_co_u32 v134, s33, v138, 39
	ds_write_b128 v154, v[56:59]
	ds_write_b128 v154, v[144:147] offset:16
	ds_write_b128 v154, v[155:158] offset:32
	;; [unrolled: 1-line block ×12, first 2 shown]
	v_add_co_ci_u32_e64 v135, null, 0, 0, s33
	v_mul_u32_u24_e32 v56, 13, v134
	buffer_store_dword v56, off, s[48:51], 0 offset:900 ; 4-byte Folded Spill
	s_and_saveexec_b32 s33, vcc_lo
	s_cbranch_execz .LBB0_7
; %bb.6:
	v_add_f64 v[52:53], v[4:5], v[52:53]
	v_add_f64 v[54:55], v[6:7], v[54:55]
	v_mul_f64 v[56:57], v[122:123], s[14:15]
	v_mul_f64 v[148:149], v[80:81], s[26:27]
	;; [unrolled: 1-line block ×3, first 2 shown]
	v_add_f64 v[48:49], v[52:53], v[48:49]
	v_add_f64 v[50:51], v[54:55], v[50:51]
	v_mul_f64 v[52:53], v[122:123], s[18:19]
	v_mul_f64 v[54:55], v[122:123], s[22:23]
	v_add_f64 v[44:45], v[48:49], v[44:45]
	v_add_f64 v[46:47], v[50:51], v[46:47]
	v_mul_f64 v[48:49], v[122:123], s[30:31]
	v_mul_f64 v[50:51], v[122:123], s[16:17]
	v_add_f64 v[40:41], v[44:45], v[40:41]
	v_add_f64 v[42:43], v[46:47], v[42:43]
	v_fma_f64 v[58:59], v[120:121], s[28:29], v[48:49]
	v_fma_f64 v[48:49], v[120:121], s[28:29], -v[48:49]
	v_fma_f64 v[122:123], v[120:121], s[12:13], v[50:51]
	v_fma_f64 v[50:51], v[120:121], s[12:13], -v[50:51]
	v_add_f64 v[36:37], v[40:41], v[36:37]
	v_add_f64 v[38:39], v[42:43], v[38:39]
	v_mul_f64 v[40:41], v[130:131], s[20:21]
	v_add_f64 v[58:59], v[4:5], v[58:59]
	v_add_f64 v[48:49], v[4:5], v[48:49]
	;; [unrolled: 1-line block ×5, first 2 shown]
	v_mul_f64 v[36:37], v[130:131], s[26:27]
	v_mul_f64 v[38:39], v[120:121], s[4:5]
	v_fma_f64 v[46:47], v[126:127], s[14:15], v[40:41]
	v_fma_f64 v[40:41], v[126:127], s[42:43], v[40:41]
	v_add_f64 v[24:25], v[28:29], v[24:25]
	v_add_f64 v[26:27], v[30:31], v[26:27]
	v_mul_f64 v[28:29], v[130:131], s[28:29]
	v_mul_f64 v[30:31], v[130:131], s[4:5]
	v_fma_f64 v[44:45], v[126:127], s[38:39], v[36:37]
	v_fma_f64 v[36:37], v[126:127], s[22:23], v[36:37]
	v_add_f64 v[38:39], v[38:39], -v[124:125]
	v_fma_f64 v[124:125], v[120:121], s[24:25], v[52:53]
	v_fma_f64 v[52:53], v[120:121], s[24:25], -v[52:53]
	v_add_f64 v[46:47], v[6:7], v[46:47]
	v_add_f64 v[40:41], v[6:7], v[40:41]
	;; [unrolled: 1-line block ×4, first 2 shown]
	v_mul_f64 v[24:25], v[130:131], s[12:13]
	v_mul_f64 v[26:27], v[130:131], s[24:25]
	v_fma_f64 v[42:43], v[126:127], s[44:45], v[28:29]
	v_fma_f64 v[28:29], v[126:127], s[30:31], v[28:29]
	v_add_f64 v[30:31], v[128:129], v[30:31]
	v_fma_f64 v[128:129], v[120:121], s[20:21], -v[56:57]
	v_fma_f64 v[56:57], v[120:121], s[20:21], v[56:57]
	v_add_f64 v[52:53], v[4:5], v[52:53]
	v_add_f64 v[38:39], v[4:5], v[38:39]
	;; [unrolled: 1-line block ×6, first 2 shown]
	v_fma_f64 v[20:21], v[126:127], s[34:35], v[24:25]
	v_fma_f64 v[22:23], v[126:127], s[16:17], v[24:25]
	;; [unrolled: 1-line block ×4, first 2 shown]
	v_fma_f64 v[126:127], v[120:121], s[26:27], -v[54:55]
	v_fma_f64 v[54:55], v[120:121], s[26:27], v[54:55]
	v_add_f64 v[42:43], v[6:7], v[42:43]
	v_add_f64 v[120:121], v[4:5], v[122:123]
	;; [unrolled: 1-line block ×8, first 2 shown]
	v_mul_f64 v[16:17], v[116:117], s[4:5]
	v_add_f64 v[14:15], v[18:19], v[14:15]
	v_mul_f64 v[18:19], v[100:101], s[36:37]
	v_add_f64 v[20:21], v[6:7], v[20:21]
	v_add_f64 v[22:23], v[6:7], v[22:23]
	v_add_f64 v[126:127], v[4:5], v[126:127]
	v_add_f64 v[54:55], v[4:5], v[54:55]
	v_add_f64 v[24:25], v[6:7], v[24:25]
	v_add_f64 v[26:27], v[6:7], v[26:27]
	v_add_f64 v[152:153], v[12:13], v[8:9]
	v_fma_f64 v[4:5], v[112:113], s[0:1], v[16:17]
	v_fma_f64 v[16:17], v[112:113], s[36:37], v[16:17]
	;; [unrolled: 1-line block ×3, first 2 shown]
	v_mul_f64 v[8:9], v[116:117], s[20:21]
	v_mul_f64 v[12:13], v[116:117], s[26:27]
	v_fma_f64 v[18:19], v[96:97], s[4:5], -v[18:19]
	v_add_f64 v[0:1], v[152:153], v[0:1]
	v_add_f64 v[4:5], v[4:5], v[42:43]
	v_mul_f64 v[42:43], v[106:107], s[12:13]
	v_add_f64 v[6:7], v[6:7], v[58:59]
	v_add_f64 v[16:17], v[16:17], v[28:29]
	;; [unrolled: 1-line block ×3, first 2 shown]
	v_fma_f64 v[118:119], v[112:113], s[22:23], v[12:13]
	v_fma_f64 v[12:13], v[112:113], s[38:39], v[12:13]
	v_add_f64 v[18:19], v[18:19], v[48:49]
	v_mul_f64 v[28:29], v[100:101], s[38:39]
	v_fma_f64 v[58:59], v[102:103], s[34:35], v[42:43]
	v_fma_f64 v[42:43], v[102:103], s[16:17], v[42:43]
	v_add_f64 v[8:9], v[8:9], v[30:31]
	v_add_f64 v[20:21], v[118:119], v[20:21]
	;; [unrolled: 1-line block ×3, first 2 shown]
	v_mul_f64 v[30:31], v[90:91], s[26:27]
	v_fma_f64 v[48:49], v[96:97], s[26:27], v[28:29]
	v_fma_f64 v[22:23], v[96:97], s[26:27], -v[28:29]
	v_mul_f64 v[28:29], v[100:101], s[34:35]
	v_add_f64 v[4:5], v[58:59], v[4:5]
	v_mul_f64 v[58:59], v[94:95], s[16:17]
	v_add_f64 v[16:17], v[42:43], v[16:17]
	v_add_f64 v[30:31], v[30:31], -v[108:109]
	v_add_f64 v[48:49], v[48:49], v[120:121]
	v_add_f64 v[22:23], v[22:23], v[50:51]
	v_fma_f64 v[50:51], v[96:97], s[12:13], v[28:29]
	v_fma_f64 v[128:129], v[90:91], s[12:13], v[58:59]
	v_fma_f64 v[42:43], v[90:91], s[12:13], -v[58:59]
	v_add_f64 v[50:51], v[50:51], v[122:123]
	v_add_f64 v[6:7], v[128:129], v[6:7]
	v_mul_f64 v[128:129], v[98:99], s[20:21]
	v_add_f64 v[18:19], v[42:43], v[18:19]
	v_mul_f64 v[42:43], v[106:107], s[20:21]
	v_fma_f64 v[130:131], v[82:83], s[14:15], v[128:129]
	v_add_f64 v[4:5], v[130:131], v[4:5]
	v_mul_f64 v[130:131], v[86:87], s[42:43]
	v_fma_f64 v[140:141], v[76:77], s[20:21], v[130:131]
	;; [unrolled: 3-line block ×4, first 2 shown]
	v_add_f64 v[146:147], v[146:147], v[6:7]
	v_fma_f64 v[6:7], v[62:63], s[22:23], v[148:149]
	v_add_f64 v[6:7], v[6:7], v[4:5]
	v_fma_f64 v[4:5], v[60:61], s[26:27], v[150:151]
	v_add_f64 v[4:5], v[4:5], v[146:147]
	v_add_f64 v[146:147], v[14:15], v[10:11]
	v_mul_f64 v[10:11], v[96:97], s[20:21]
	v_mul_f64 v[14:15], v[116:117], s[12:13]
	v_add_f64 v[2:3], v[146:147], v[2:3]
	v_add_f64 v[10:11], v[10:11], -v[114:115]
	v_mul_f64 v[114:115], v[116:117], s[28:29]
	v_fma_f64 v[155:156], v[112:113], s[16:17], v[14:15]
	v_fma_f64 v[14:15], v[112:113], s[34:35], v[14:15]
	v_mul_f64 v[116:117], v[116:117], s[24:25]
	v_add_f64 v[10:11], v[10:11], v[38:39]
	v_fma_f64 v[157:158], v[112:113], s[44:45], v[114:115]
	v_add_f64 v[24:25], v[155:156], v[24:25]
	v_add_f64 v[14:15], v[14:15], v[26:27]
	v_fma_f64 v[26:27], v[96:97], s[12:13], -v[28:29]
	v_fma_f64 v[114:115], v[112:113], s[30:31], v[114:115]
	v_fma_f64 v[159:160], v[112:113], s[18:19], v[116:117]
	;; [unrolled: 1-line block ×3, first 2 shown]
	v_add_f64 v[10:11], v[30:31], v[10:11]
	v_add_f64 v[28:29], v[157:158], v[44:45]
	v_fma_f64 v[44:45], v[102:103], s[42:43], v[42:43]
	v_fma_f64 v[42:43], v[102:103], s[14:15], v[42:43]
	v_add_f64 v[26:27], v[26:27], v[52:53]
	v_add_f64 v[36:37], v[114:115], v[36:37]
	;; [unrolled: 1-line block ×5, first 2 shown]
	v_mul_f64 v[44:45], v[94:95], s[14:15]
	v_add_f64 v[12:13], v[42:43], v[12:13]
	v_fma_f64 v[42:43], v[90:91], s[20:21], -v[44:45]
	v_fma_f64 v[52:53], v[90:91], s[20:21], v[44:45]
	v_add_f64 v[22:23], v[42:43], v[22:23]
	v_mul_f64 v[42:43], v[106:107], s[4:5]
	v_add_f64 v[48:49], v[52:53], v[48:49]
	v_fma_f64 v[44:45], v[102:103], s[0:1], v[42:43]
	v_fma_f64 v[42:43], v[102:103], s[36:37], v[42:43]
	v_add_f64 v[24:25], v[44:45], v[24:25]
	v_mul_f64 v[44:45], v[94:95], s[36:37]
	v_add_f64 v[14:15], v[42:43], v[14:15]
	v_fma_f64 v[42:43], v[90:91], s[4:5], -v[44:45]
	v_fma_f64 v[52:53], v[90:91], s[4:5], v[44:45]
	v_add_f64 v[26:27], v[42:43], v[26:27]
	v_mul_f64 v[42:43], v[106:107], s[24:25]
	v_add_f64 v[50:51], v[52:53], v[50:51]
	v_fma_f64 v[44:45], v[102:103], s[18:19], v[42:43]
	v_fma_f64 v[38:39], v[102:103], s[40:41], v[42:43]
	v_mul_f64 v[42:43], v[106:107], s[28:29]
	v_add_f64 v[28:29], v[44:45], v[28:29]
	v_fma_f64 v[44:45], v[82:83], s[42:43], v[128:129]
	v_add_f64 v[36:37], v[38:39], v[36:37]
	v_fma_f64 v[38:39], v[102:103], s[30:31], v[42:43]
	v_fma_f64 v[42:43], v[102:103], s[44:45], v[42:43]
	v_add_f64 v[16:17], v[44:45], v[16:17]
	v_fma_f64 v[44:45], v[76:77], s[20:21], -v[130:131]
	v_add_f64 v[38:39], v[38:39], v[46:47]
	v_mul_f64 v[46:47], v[98:99], s[4:5]
	v_add_f64 v[40:41], v[42:43], v[40:41]
	v_add_f64 v[18:19], v[44:45], v[18:19]
	v_mul_f64 v[44:45], v[98:99], s[28:29]
	v_fma_f64 v[52:53], v[82:83], s[30:31], v[44:45]
	v_fma_f64 v[44:45], v[82:83], s[44:45], v[44:45]
	v_add_f64 v[20:21], v[52:53], v[20:21]
	v_mul_f64 v[52:53], v[86:87], s[44:45]
	v_add_f64 v[12:13], v[44:45], v[12:13]
	v_fma_f64 v[44:45], v[76:77], s[28:29], -v[52:53]
	v_fma_f64 v[58:59], v[76:77], s[28:29], v[52:53]
	v_add_f64 v[22:23], v[44:45], v[22:23]
	v_mul_f64 v[44:45], v[98:99], s[26:27]
	v_add_f64 v[48:49], v[58:59], v[48:49]
	v_fma_f64 v[52:53], v[82:83], s[38:39], v[44:45]
	v_fma_f64 v[44:45], v[82:83], s[22:23], v[44:45]
	v_add_f64 v[24:25], v[52:53], v[24:25]
	v_mul_f64 v[52:53], v[86:87], s[22:23]
	v_add_f64 v[14:15], v[44:45], v[14:15]
	v_fma_f64 v[44:45], v[76:77], s[26:27], -v[52:53]
	v_fma_f64 v[58:59], v[76:77], s[26:27], v[52:53]
	v_add_f64 v[26:27], v[44:45], v[26:27]
	v_fma_f64 v[44:45], v[70:71], s[18:19], v[140:141]
	v_add_f64 v[50:51], v[58:59], v[50:51]
	v_add_f64 v[16:17], v[44:45], v[16:17]
	v_fma_f64 v[44:45], v[66:67], s[24:25], -v[144:145]
	v_add_f64 v[18:19], v[44:45], v[18:19]
	v_mul_f64 v[44:45], v[88:89], s[4:5]
	v_fma_f64 v[52:53], v[70:71], s[0:1], v[44:45]
	v_fma_f64 v[44:45], v[70:71], s[36:37], v[44:45]
	v_add_f64 v[20:21], v[52:53], v[20:21]
	v_mul_f64 v[52:53], v[78:79], s[36:37]
	v_add_f64 v[44:45], v[44:45], v[12:13]
	v_fma_f64 v[12:13], v[66:67], s[4:5], -v[52:53]
	v_fma_f64 v[58:59], v[66:67], s[4:5], v[52:53]
	v_add_f64 v[52:53], v[12:13], v[22:23]
	v_mul_f64 v[12:13], v[88:89], s[28:29]
	v_add_f64 v[48:49], v[58:59], v[48:49]
	v_fma_f64 v[22:23], v[70:71], s[30:31], v[12:13]
	v_fma_f64 v[12:13], v[70:71], s[44:45], v[12:13]
	v_add_f64 v[58:59], v[22:23], v[24:25]
	v_mul_f64 v[22:23], v[78:79], s[44:45]
	v_fma_f64 v[24:25], v[66:67], s[28:29], v[22:23]
	v_add_f64 v[50:51], v[24:25], v[50:51]
	v_add_f64 v[24:25], v[12:13], v[14:15]
	v_fma_f64 v[12:13], v[66:67], s[28:29], -v[22:23]
	v_mul_f64 v[14:15], v[100:101], s[18:19]
	v_add_f64 v[114:115], v[12:13], v[26:27]
	v_mul_f64 v[12:13], v[100:101], s[30:31]
	v_fma_f64 v[26:27], v[96:97], s[24:25], -v[14:15]
	v_fma_f64 v[14:15], v[96:97], s[24:25], v[14:15]
	v_fma_f64 v[22:23], v[96:97], s[28:29], -v[12:13]
	v_fma_f64 v[12:13], v[96:97], s[28:29], v[12:13]
	v_mul_f64 v[96:97], v[106:107], s[26:27]
	v_add_f64 v[26:27], v[26:27], v[124:125]
	v_add_f64 v[14:15], v[14:15], v[56:57]
	v_mul_f64 v[56:57], v[98:99], s[24:25]
	v_mul_f64 v[98:99], v[98:99], s[12:13]
	v_fma_f64 v[106:107], v[60:61], s[26:27], -v[150:151]
	v_add_f64 v[22:23], v[22:23], v[126:127]
	v_add_f64 v[12:13], v[12:13], v[54:55]
	v_mul_f64 v[54:55], v[94:95], s[40:41]
	v_mul_f64 v[94:95], v[94:95], s[30:31]
	v_add_f64 v[96:97], v[110:111], v[96:97]
	v_add_f64 v[56:57], v[104:105], v[56:57]
	v_fma_f64 v[30:31], v[82:83], s[34:35], v[98:99]
	v_fma_f64 v[104:105], v[62:63], s[38:39], v[148:149]
	v_fma_f64 v[100:101], v[90:91], s[24:25], -v[54:55]
	v_fma_f64 v[54:55], v[90:91], s[24:25], v[54:55]
	v_fma_f64 v[102:103], v[90:91], s[28:29], -v[94:95]
	v_fma_f64 v[90:91], v[90:91], s[28:29], v[94:95]
	v_mul_f64 v[94:95], v[76:77], s[24:25]
	v_add_f64 v[8:9], v[96:97], v[8:9]
	v_fma_f64 v[96:97], v[82:83], s[36:37], v[46:47]
	v_fma_f64 v[46:47], v[82:83], s[0:1], v[46:47]
	v_fma_f64 v[82:83], v[82:83], s[16:17], v[98:99]
	v_add_f64 v[30:31], v[30:31], v[38:39]
	v_mul_f64 v[38:39], v[72:73], s[18:19]
	v_add_f64 v[22:23], v[100:101], v[22:23]
	v_mul_f64 v[100:101], v[66:67], s[12:13]
	;; [unrolled: 2-line block ×3, first 2 shown]
	v_add_f64 v[92:93], v[94:95], -v[92:93]
	v_mul_f64 v[94:95], v[86:87], s[34:35]
	v_mul_f64 v[86:87], v[86:87], s[36:37]
	v_add_f64 v[36:37], v[96:97], v[36:37]
	v_mul_f64 v[96:97], v[88:89], s[20:21]
	v_mul_f64 v[88:89], v[88:89], s[26:27]
	v_add_f64 v[12:13], v[54:55], v[12:13]
	v_add_f64 v[14:15], v[90:91], v[14:15]
	v_mul_f64 v[90:91], v[80:81], s[28:29]
	v_add_f64 v[8:9], v[56:57], v[8:9]
	v_add_f64 v[28:29], v[46:47], v[28:29]
	v_mul_f64 v[46:47], v[80:81], s[12:13]
	v_mul_f64 v[54:55], v[80:81], s[24:25]
	v_add_f64 v[40:41], v[82:83], v[40:41]
	v_fma_f64 v[108:109], v[60:61], s[24:25], -v[38:39]
	v_add_f64 v[74:75], v[100:101], -v[74:75]
	v_mul_f64 v[100:101], v[80:81], s[20:21]
	v_add_f64 v[84:85], v[84:85], v[102:103]
	v_mul_f64 v[102:103], v[78:79], s[38:39]
	v_fma_f64 v[98:99], v[76:77], s[12:13], -v[94:95]
	v_fma_f64 v[42:43], v[76:77], s[4:5], -v[86:87]
	v_fma_f64 v[86:87], v[76:77], s[4:5], v[86:87]
	v_mul_f64 v[78:79], v[78:79], s[14:15]
	v_fma_f64 v[76:77], v[76:77], s[12:13], v[94:95]
	v_mul_f64 v[94:95], v[60:61], s[28:29]
	v_add_f64 v[10:11], v[92:93], v[10:11]
	v_fma_f64 v[92:93], v[70:71], s[14:15], v[96:97]
	v_mul_f64 v[80:81], v[80:81], s[4:5]
	v_fma_f64 v[96:97], v[70:71], s[42:43], v[96:97]
	v_add_f64 v[68:69], v[68:69], v[90:91]
	v_fma_f64 v[56:57], v[62:63], s[40:41], v[54:55]
	v_fma_f64 v[54:55], v[62:63], s[18:19], v[54:55]
	v_add_f64 v[84:85], v[84:85], v[8:9]
	v_add_f64 v[8:9], v[106:107], v[18:19]
	;; [unrolled: 1-line block ×4, first 2 shown]
	v_fma_f64 v[42:43], v[70:71], s[38:39], v[88:89]
	v_mul_f64 v[98:99], v[72:73], s[42:43]
	v_add_f64 v[12:13], v[86:87], v[12:13]
	v_mul_f64 v[86:87], v[72:73], s[16:17]
	v_mul_f64 v[72:73], v[72:73], s[36:37]
	v_fma_f64 v[70:71], v[70:71], s[22:23], v[88:89]
	v_fma_f64 v[88:89], v[66:67], s[26:27], -v[102:103]
	v_fma_f64 v[82:83], v[66:67], s[20:21], -v[78:79]
	v_fma_f64 v[78:79], v[66:67], s[20:21], v[78:79]
	v_fma_f64 v[66:67], v[66:67], s[26:27], v[102:103]
	v_add_f64 v[14:15], v[76:77], v[14:15]
	v_fma_f64 v[102:103], v[60:61], s[24:25], v[38:39]
	v_add_f64 v[36:37], v[92:93], v[36:37]
	v_fma_f64 v[38:39], v[62:63], s[42:43], v[100:101]
	v_add_f64 v[64:65], v[94:95], -v[64:65]
	v_add_f64 v[74:75], v[74:75], v[10:11]
	v_fma_f64 v[90:91], v[62:63], s[36:37], v[80:81]
	v_fma_f64 v[76:77], v[62:63], s[14:15], v[100:101]
	v_add_f64 v[96:97], v[96:97], v[28:29]
	v_add_f64 v[10:11], v[104:105], v[16:17]
	;; [unrolled: 1-line block ×5, first 2 shown]
	v_fma_f64 v[42:43], v[62:63], s[16:17], v[46:47]
	v_fma_f64 v[92:93], v[60:61], s[20:21], v[98:99]
	v_fma_f64 v[100:101], v[60:61], s[12:13], -v[86:87]
	v_fma_f64 v[94:95], v[60:61], s[4:5], -v[72:73]
	;; [unrolled: 1-line block ×3, first 2 shown]
	v_add_f64 v[88:89], v[88:89], v[26:27]
	v_add_f64 v[82:83], v[82:83], v[22:23]
	v_fma_f64 v[46:47], v[62:63], s[34:35], v[46:47]
	v_fma_f64 v[86:87], v[60:61], s[12:13], v[86:87]
	v_add_f64 v[78:79], v[78:79], v[12:13]
	v_fma_f64 v[62:63], v[62:63], s[0:1], v[80:81]
	v_add_f64 v[70:71], v[70:71], v[40:41]
	;; [unrolled: 2-line block ×3, first 2 shown]
	v_add_f64 v[22:23], v[38:39], v[24:25]
	v_add_f64 v[38:39], v[68:69], v[84:85]
	;; [unrolled: 1-line block ×4, first 2 shown]
	v_mul_u32_u24_e32 v52, 13, v134
	v_add_f64 v[30:31], v[90:91], v[30:31]
	v_add_f64 v[26:27], v[42:43], v[36:37]
	;; [unrolled: 1-line block ×9, first 2 shown]
	v_lshl_add_u32 v52, v52, 4, v142
	v_add_f64 v[44:45], v[86:87], v[78:79]
	v_add_f64 v[50:51], v[62:63], v[70:71]
	;; [unrolled: 1-line block ×3, first 2 shown]
	ds_write_b128 v52, v[0:3]
	ds_write_b128 v52, v[36:39] offset:16
	ds_write_b128 v52, v[28:31] offset:32
	ds_write_b128 v52, v[24:27] offset:48
	ds_write_b128 v52, v[20:23] offset:64
	ds_write_b128 v52, v[16:19] offset:80
	ds_write_b128 v52, v[8:11] offset:96
	ds_write_b128 v52, v[4:7] offset:112
	ds_write_b128 v52, v[12:15] offset:128
	ds_write_b128 v52, v[40:43] offset:144
	ds_write_b128 v52, v[44:47] offset:160
	ds_write_b128 v52, v[48:51] offset:176
	ds_write_b128 v52, v[32:35] offset:192
.LBB0_7:
	s_or_b32 exec_lo, exec_lo, s33
	v_and_b32_e32 v0, 0xff, v138
	v_mov_b32_e32 v80, 6
	s_waitcnt lgkmcnt(0)
	s_waitcnt_vscnt null, 0x0
	s_barrier
	buffer_gl0_inv
	v_mul_lo_u16 v0, 0x4f, v0
	v_add_co_u32 v102, s18, 0x4e, v138
	s_mov_b32 s0, 0x134454ff
	s_mov_b32 s1, 0x3fee6f0e
	v_lshrrev_b16 v87, 10, v0
	v_and_b32_e32 v0, 0xff, v134
	s_mov_b32 s5, 0xbfee6f0e
	s_mov_b32 s4, s0
	;; [unrolled: 1-line block ×3, first 2 shown]
	v_mul_lo_u16 v1, v87, 13
	v_mul_lo_u16 v0, 0x4f, v0
	s_mov_b32 s13, 0x3fe2cf23
	s_mov_b32 s15, 0xbfe2cf23
	;; [unrolled: 1-line block ×3, first 2 shown]
	v_sub_nc_u16 v89, v138, v1
	v_lshrrev_b16 v84, 10, v0
	s_mov_b32 s16, 0x372fe950
	s_mov_b32 s17, 0x3fd3c6ef
	v_lshlrev_b32_sdwa v0, v80, v89 dst_sel:DWORD dst_unused:UNUSED_PAD src0_sel:DWORD src1_sel:BYTE_0
	v_mul_lo_u16 v1, v84, 13
	s_clause 0x1
	global_load_dwordx4 v[60:63], v0, s[2:3]
	global_load_dwordx4 v[68:71], v0, s[2:3] offset:16
	v_sub_nc_u16 v85, v134, v1
	global_load_dwordx4 v[76:79], v0, s[2:3] offset:32
	v_lshlrev_b32_sdwa v1, v80, v85 dst_sel:DWORD dst_unused:UNUSED_PAD src0_sel:DWORD src1_sel:BYTE_0
	s_clause 0x1
	global_load_dwordx4 v[107:110], v0, s[2:3] offset:48
	global_load_dwordx4 v[103:106], v1, s[2:3]
	v_and_b32_e32 v0, 0xff, v102
	s_clause 0x2
	global_load_dwordx4 v[56:59], v1, s[2:3] offset:16
	global_load_dwordx4 v[90:93], v1, s[2:3] offset:32
	;; [unrolled: 1-line block ×3, first 2 shown]
	v_mul_lo_u16 v0, 0x4f, v0
	v_lshrrev_b16 v86, 10, v0
	v_mul_lo_u16 v0, v86, 13
	v_sub_nc_u16 v88, v102, v0
	v_lshlrev_b32_sdwa v0, v80, v88 dst_sel:DWORD dst_unused:UNUSED_PAD src0_sel:DWORD src1_sel:BYTE_0
	s_clause 0x3
	global_load_dwordx4 v[119:122], v0, s[2:3]
	global_load_dwordx4 v[111:114], v0, s[2:3] offset:16
	global_load_dwordx4 v[98:101], v0, s[2:3] offset:32
	;; [unrolled: 1-line block ×3, first 2 shown]
	ds_read_b128 v[0:3], v143 offset:3120
	ds_read_b128 v[4:7], v143 offset:6240
	;; [unrolled: 1-line block ×8, first 2 shown]
	s_waitcnt vmcnt(11) lgkmcnt(7)
	v_mul_f64 v[36:37], v[2:3], v[62:63]
	v_mul_f64 v[38:39], v[0:1], v[62:63]
	s_waitcnt vmcnt(10) lgkmcnt(6)
	v_mul_f64 v[40:41], v[6:7], v[70:71]
	v_mul_f64 v[42:43], v[4:5], v[70:71]
	s_waitcnt vmcnt(9) lgkmcnt(5)
	v_mul_f64 v[44:45], v[10:11], v[78:79]
	v_mul_f64 v[46:47], v[8:9], v[78:79]
	s_waitcnt vmcnt(8) lgkmcnt(4)
	v_mul_f64 v[48:49], v[14:15], v[109:110]
	v_mul_f64 v[50:51], v[12:13], v[109:110]
	s_waitcnt vmcnt(7) lgkmcnt(3)
	v_mul_f64 v[52:53], v[18:19], v[105:106]
	v_mul_f64 v[54:55], v[16:17], v[105:106]
	v_fma_f64 v[66:67], v[0:1], v[60:61], -v[36:37]
	buffer_store_dword v60, off, s[48:51], 0 offset:456 ; 4-byte Folded Spill
	buffer_store_dword v61, off, s[48:51], 0 offset:460 ; 4-byte Folded Spill
	;; [unrolled: 1-line block ×4, first 2 shown]
	v_fma_f64 v[72:73], v[4:5], v[68:69], -v[40:41]
	s_waitcnt vmcnt(6) lgkmcnt(2)
	v_mul_f64 v[36:37], v[22:23], v[58:59]
	v_fma_f64 v[74:75], v[8:9], v[76:77], -v[44:45]
	v_mul_f64 v[8:9], v[20:21], v[58:59]
	v_add_f64 v[126:127], v[72:73], -v[66:67]
	v_add_f64 v[124:125], v[72:73], -v[74:75]
	v_fma_f64 v[62:63], v[2:3], v[60:61], v[38:39]
	ds_read_b128 v[0:3], v143 offset:4368
	buffer_store_dword v68, off, s[48:51], 0 offset:424 ; 4-byte Folded Spill
	buffer_store_dword v69, off, s[48:51], 0 offset:428 ; 4-byte Folded Spill
	;; [unrolled: 1-line block ×4, first 2 shown]
	s_waitcnt vmcnt(5) lgkmcnt(2)
	v_mul_f64 v[38:39], v[26:27], v[92:93]
	v_fma_f64 v[68:69], v[6:7], v[68:69], v[42:43]
	ds_read_b128 v[4:7], v143 offset:7488
	buffer_store_dword v76, off, s[48:51], 0 offset:408 ; 4-byte Folded Spill
	buffer_store_dword v77, off, s[48:51], 0 offset:412 ; 4-byte Folded Spill
	;; [unrolled: 1-line block ×4, first 2 shown]
	v_fma_f64 v[78:79], v[12:13], v[107:108], -v[48:49]
	buffer_store_dword v107, off, s[48:51], 0 offset:392 ; 4-byte Folded Spill
	buffer_store_dword v108, off, s[48:51], 0 offset:396 ; 4-byte Folded Spill
	;; [unrolled: 1-line block ×4, first 2 shown]
	v_mul_f64 v[12:13], v[24:25], v[92:93]
	v_fma_f64 v[70:71], v[10:11], v[76:77], v[46:47]
	v_fma_f64 v[76:77], v[14:15], v[107:108], v[50:51]
	v_fma_f64 v[50:51], v[16:17], v[103:104], -v[52:53]
	buffer_store_dword v103, off, s[48:51], 0 offset:376 ; 4-byte Folded Spill
	buffer_store_dword v104, off, s[48:51], 0 offset:380 ; 4-byte Folded Spill
	;; [unrolled: 1-line block ×4, first 2 shown]
	s_waitcnt vmcnt(4) lgkmcnt(2)
	v_mul_f64 v[14:15], v[30:31], v[117:118]
	v_mul_f64 v[16:17], v[28:29], v[117:118]
	v_fma_f64 v[64:65], v[28:29], v[115:116], -v[14:15]
	s_waitcnt vmcnt(2) lgkmcnt(0)
	v_mul_f64 v[14:15], v[4:5], v[113:114]
	v_add_f64 v[130:131], v[50:51], -v[64:65]
	v_fma_f64 v[48:49], v[18:19], v[103:104], v[54:55]
	v_fma_f64 v[54:55], v[20:21], v[56:57], -v[36:37]
	buffer_store_dword v56, off, s[48:51], 0 offset:324 ; 4-byte Folded Spill
	buffer_store_dword v57, off, s[48:51], 0 offset:328 ; 4-byte Folded Spill
	;; [unrolled: 1-line block ×4, first 2 shown]
	v_fma_f64 v[58:59], v[24:25], v[90:91], -v[38:39]
	v_mul_f64 v[18:19], v[2:3], v[121:122]
	v_mul_f64 v[20:21], v[6:7], v[113:114]
	v_add_co_u32 v104, s19, 0x75, v138
	v_add_co_ci_u32_e64 v103, null, 0, 0, s18
	v_and_b32_e32 v108, 0xff, v104
	v_add_f64 v[140:141], v[54:55], -v[58:59]
	v_fma_f64 v[24:25], v[0:1], v[119:120], -v[18:19]
	v_fma_f64 v[36:37], v[4:5], v[111:112], -v[20:21]
	v_fma_f64 v[52:53], v[22:23], v[56:57], v[8:9]
	ds_read_b128 v[8:11], v143 offset:10608
	buffer_store_dword v90, off, s[48:51], 0 offset:308 ; 4-byte Folded Spill
	buffer_store_dword v91, off, s[48:51], 0 offset:312 ; 4-byte Folded Spill
	;; [unrolled: 1-line block ×8, first 2 shown]
	s_waitcnt vmcnt(1) lgkmcnt(0)
	v_mul_f64 v[4:5], v[8:9], v[100:101]
	v_fma_f64 v[56:57], v[26:27], v[90:91], v[12:13]
	v_mul_f64 v[12:13], v[0:1], v[121:122]
	buffer_store_dword v119, off, s[48:51], 0 offset:488 ; 4-byte Folded Spill
	buffer_store_dword v120, off, s[48:51], 0 offset:492 ; 4-byte Folded Spill
	;; [unrolled: 1-line block ×4, first 2 shown]
	v_fma_f64 v[60:61], v[30:31], v[115:116], v[16:17]
	v_add_f64 v[122:123], v[66:67], -v[78:79]
	v_add_f64 v[128:129], v[52:53], -v[56:57]
	v_fma_f64 v[22:23], v[2:3], v[119:120], v[12:13]
	ds_read_b128 v[0:3], v143 offset:13728
	v_mul_f64 v[12:13], v[10:11], v[100:101]
	buffer_store_dword v111, off, s[48:51], 0 offset:440 ; 4-byte Folded Spill
	buffer_store_dword v112, off, s[48:51], 0 offset:444 ; 4-byte Folded Spill
	;; [unrolled: 1-line block ×4, first 2 shown]
	v_add_f64 v[118:119], v[62:63], -v[76:77]
	v_add_f64 v[120:121], v[68:69], -v[70:71]
	v_fma_f64 v[30:31], v[8:9], v[98:99], -v[12:13]
	buffer_store_dword v98, off, s[48:51], 0 offset:360 ; 4-byte Folded Spill
	buffer_store_dword v99, off, s[48:51], 0 offset:364 ; 4-byte Folded Spill
	;; [unrolled: 1-line block ×4, first 2 shown]
	v_add_co_u32 v100, s20, 0x9c, v138
	v_mov_b32_e32 v101, 0x41
	v_and_b32_e32 v109, 0xff, v100
	v_add_f64 v[150:151], v[36:37], -v[30:31]
	v_fma_f64 v[28:29], v[6:7], v[111:112], v[14:15]
	s_waitcnt vmcnt(0) lgkmcnt(0)
	v_mul_f64 v[6:7], v[2:3], v[96:97]
	v_fma_f64 v[26:27], v[10:11], v[98:99], v[4:5]
	v_mul_f64 v[4:5], v[0:1], v[96:97]
	v_fma_f64 v[46:47], v[0:1], v[94:95], -v[6:7]
	v_mul_lo_u16 v0, 0x4f, v108
	buffer_store_dword v94, off, s[48:51], 0 offset:340 ; 4-byte Folded Spill
	buffer_store_dword v95, off, s[48:51], 0 offset:344 ; 4-byte Folded Spill
	;; [unrolled: 1-line block ×4, first 2 shown]
	v_lshrrev_b16 v90, 10, v0
	v_mul_lo_u16 v0, v90, 13
	v_sub_nc_u16 v91, v104, v0
	v_lshlrev_b32_sdwa v18, v80, v91 dst_sel:DWORD dst_unused:UNUSED_PAD src0_sel:DWORD src1_sel:BYTE_0
	v_add_f64 v[148:149], v[24:25], -v[46:47]
	global_load_dwordx4 v[10:13], v18, s[2:3]
	v_fma_f64 v[38:39], v[2:3], v[94:95], v[4:5]
	ds_read_b128 v[0:3], v143 offset:4992
	s_waitcnt vmcnt(0) lgkmcnt(0)
	v_mul_f64 v[4:5], v[2:3], v[12:13]
	v_fma_f64 v[8:9], v[0:1], v[10:11], -v[4:5]
	v_mul_f64 v[0:1], v[0:1], v[12:13]
	buffer_store_dword v10, off, s[48:51], 0 offset:632 ; 4-byte Folded Spill
	buffer_store_dword v11, off, s[48:51], 0 offset:636 ; 4-byte Folded Spill
	;; [unrolled: 1-line block ×4, first 2 shown]
	global_load_dwordx4 v[12:15], v18, s[2:3] offset:16
	v_fma_f64 v[6:7], v[2:3], v[10:11], v[0:1]
	ds_read_b128 v[0:3], v143 offset:8112
	s_waitcnt vmcnt(0) lgkmcnt(0)
	v_mul_f64 v[4:5], v[2:3], v[14:15]
	v_fma_f64 v[10:11], v[0:1], v[12:13], -v[4:5]
	v_mul_f64 v[0:1], v[0:1], v[14:15]
	buffer_store_dword v12, off, s[48:51], 0 offset:616 ; 4-byte Folded Spill
	buffer_store_dword v13, off, s[48:51], 0 offset:620 ; 4-byte Folded Spill
	;; [unrolled: 1-line block ×4, first 2 shown]
	global_load_dwordx4 v[40:43], v18, s[2:3] offset:32
	v_fma_f64 v[12:13], v[2:3], v[12:13], v[0:1]
	ds_read_b128 v[0:3], v143 offset:11232
	s_waitcnt vmcnt(0) lgkmcnt(0)
	v_mul_f64 v[4:5], v[2:3], v[42:43]
	v_fma_f64 v[16:17], v[0:1], v[40:41], -v[4:5]
	v_mul_f64 v[0:1], v[0:1], v[42:43]
	buffer_store_dword v40, off, s[48:51], 0 offset:600 ; 4-byte Folded Spill
	buffer_store_dword v41, off, s[48:51], 0 offset:604 ; 4-byte Folded Spill
	buffer_store_dword v42, off, s[48:51], 0 offset:608 ; 4-byte Folded Spill
	buffer_store_dword v43, off, s[48:51], 0 offset:612 ; 4-byte Folded Spill
	v_fma_f64 v[14:15], v[2:3], v[40:41], v[0:1]
	global_load_dwordx4 v[40:43], v18, s[2:3] offset:48
	ds_read_b128 v[0:3], v143 offset:14352
	s_waitcnt vmcnt(0) lgkmcnt(0)
	v_mul_f64 v[4:5], v[2:3], v[42:43]
	v_fma_f64 v[18:19], v[0:1], v[40:41], -v[4:5]
	v_mul_f64 v[0:1], v[0:1], v[42:43]
	buffer_store_dword v40, off, s[48:51], 0 offset:584 ; 4-byte Folded Spill
	buffer_store_dword v41, off, s[48:51], 0 offset:588 ; 4-byte Folded Spill
	;; [unrolled: 1-line block ×4, first 2 shown]
	v_fma_f64 v[20:21], v[2:3], v[40:41], v[0:1]
	v_mul_lo_u16 v0, 0x4f, v109
	ds_read_b128 v[40:43], v143 offset:5616
	v_lshrrev_b16 v92, 10, v0
	v_mul_lo_u16 v0, v92, 13
	v_sub_nc_u16 v93, v100, v0
	v_lshlrev_b32_sdwa v94, v80, v93 dst_sel:DWORD dst_unused:UNUSED_PAD src0_sel:DWORD src1_sel:BYTE_0
	global_load_dwordx4 v[80:83], v94, s[2:3]
	s_waitcnt vmcnt(0) lgkmcnt(0)
	v_mul_f64 v[0:1], v[42:43], v[82:83]
	v_fma_f64 v[2:3], v[40:41], v[80:81], -v[0:1]
	v_mul_f64 v[0:1], v[40:41], v[82:83]
	buffer_store_dword v80, off, s[48:51], 0 offset:568 ; 4-byte Folded Spill
	buffer_store_dword v81, off, s[48:51], 0 offset:572 ; 4-byte Folded Spill
	;; [unrolled: 1-line block ×4, first 2 shown]
	v_fma_f64 v[0:1], v[42:43], v[80:81], v[0:1]
	global_load_dwordx4 v[80:83], v94, s[2:3] offset:16
	ds_read_b128 v[40:43], v143 offset:8736
	s_waitcnt vmcnt(0) lgkmcnt(0)
	v_mul_f64 v[4:5], v[42:43], v[82:83]
	v_fma_f64 v[4:5], v[40:41], v[80:81], -v[4:5]
	v_mul_f64 v[40:41], v[40:41], v[82:83]
	buffer_store_dword v80, off, s[48:51], 0 offset:520 ; 4-byte Folded Spill
	buffer_store_dword v81, off, s[48:51], 0 offset:524 ; 4-byte Folded Spill
	;; [unrolled: 1-line block ×4, first 2 shown]
	global_load_dwordx4 v[95:98], v94, s[2:3] offset:32
	v_fma_f64 v[40:41], v[42:43], v[80:81], v[40:41]
	ds_read_b128 v[80:83], v143 offset:11856
	s_waitcnt vmcnt(0) lgkmcnt(0)
	v_mul_f64 v[42:43], v[82:83], v[97:98]
	v_fma_f64 v[44:45], v[80:81], v[95:96], -v[42:43]
	v_mul_f64 v[42:43], v[80:81], v[97:98]
	buffer_store_dword v95, off, s[48:51], 0 offset:552 ; 4-byte Folded Spill
	buffer_store_dword v96, off, s[48:51], 0 offset:556 ; 4-byte Folded Spill
	;; [unrolled: 1-line block ×4, first 2 shown]
	global_load_dwordx4 v[110:113], v94, s[2:3] offset:48
	v_fma_f64 v[42:43], v[82:83], v[95:96], v[42:43]
	ds_read_b128 v[94:97], v143 offset:14976
	s_waitcnt vmcnt(0) lgkmcnt(0)
	v_mul_f64 v[80:81], v[96:97], v[112:113]
	v_mul_f64 v[82:83], v[94:95], v[112:113]
	v_fma_f64 v[80:81], v[94:95], v[110:111], -v[80:81]
	buffer_store_dword v110, off, s[48:51], 0 offset:504 ; 4-byte Folded Spill
	buffer_store_dword v111, off, s[48:51], 0 offset:508 ; 4-byte Folded Spill
	;; [unrolled: 1-line block ×4, first 2 shown]
	v_add_f64 v[94:95], v[66:67], -v[72:73]
	v_fma_f64 v[82:83], v[96:97], v[110:111], v[82:83]
	v_add_f64 v[96:97], v[78:79], -v[74:75]
	v_add_f64 v[110:111], v[72:73], v[74:75]
	v_add_f64 v[98:99], v[94:95], v[96:97]
	v_add_f64 v[94:95], v[62:63], -v[68:69]
	v_add_f64 v[96:97], v[76:77], -v[70:71]
	v_add_f64 v[105:106], v[94:95], v[96:97]
	ds_read_b128 v[94:97], v143
	s_waitcnt lgkmcnt(0)
	v_fma_f64 v[114:115], v[110:111], -0.5, v[94:95]
	v_add_f64 v[110:111], v[68:69], v[70:71]
	v_fma_f64 v[116:117], v[110:111], -0.5, v[96:97]
	v_fma_f64 v[110:111], v[118:119], s[0:1], v[114:115]
	v_fma_f64 v[114:115], v[118:119], s[4:5], v[114:115]
	;; [unrolled: 1-line block ×10, first 2 shown]
	v_add_f64 v[98:99], v[66:67], v[78:79]
	v_fma_f64 v[112:113], v[105:106], s[16:17], v[112:113]
	v_fma_f64 v[116:117], v[105:106], s[16:17], v[116:117]
	v_add_f64 v[105:106], v[62:63], v[76:77]
	v_fma_f64 v[98:99], v[98:99], -0.5, v[94:95]
	v_add_f64 v[94:95], v[94:95], v[66:67]
	v_fma_f64 v[105:106], v[105:106], -0.5, v[96:97]
	v_add_f64 v[96:97], v[96:97], v[62:63]
	v_add_f64 v[62:63], v[68:69], -v[62:63]
	v_add_f64 v[66:67], v[94:95], v[72:73]
	v_fma_f64 v[94:95], v[124:125], s[4:5], v[105:106]
	v_add_f64 v[72:73], v[96:97], v[68:69]
	v_add_f64 v[66:67], v[66:67], v[74:75]
	;; [unrolled: 1-line block ×3, first 2 shown]
	v_add_f64 v[72:73], v[74:75], -v[78:79]
	v_add_f64 v[66:67], v[66:67], v[78:79]
	v_add_f64 v[70:71], v[70:71], -v[76:77]
	v_fma_f64 v[74:75], v[120:121], s[4:5], v[98:99]
	v_fma_f64 v[78:79], v[124:125], s[0:1], v[105:106]
	v_add_f64 v[105:106], v[52:53], v[56:57]
	v_add_f64 v[68:69], v[68:69], v[76:77]
	v_fma_f64 v[76:77], v[120:121], s[0:1], v[98:99]
	v_add_f64 v[96:97], v[126:127], v[72:73]
	v_add_f64 v[62:63], v[62:63], v[70:71]
	v_fma_f64 v[70:71], v[118:119], s[12:13], v[74:75]
	v_fma_f64 v[72:73], v[122:123], s[14:15], v[78:79]
	v_add_f64 v[78:79], v[64:65], -v[58:59]
	v_add_f64 v[98:99], v[54:55], v[58:59]
	v_add_f64 v[126:127], v[48:49], -v[60:61]
	v_fma_f64 v[74:75], v[118:119], s[14:15], v[76:77]
	v_fma_f64 v[76:77], v[122:123], s[12:13], v[94:95]
	v_add_f64 v[94:95], v[60:61], -v[56:57]
	v_fma_f64 v[70:71], v[96:97], s[16:17], v[70:71]
	v_fma_f64 v[72:73], v[62:63], s[16:17], v[72:73]
	;; [unrolled: 1-line block ×4, first 2 shown]
	v_add_f64 v[62:63], v[50:51], -v[54:55]
	v_add_f64 v[62:63], v[62:63], v[78:79]
	v_add_f64 v[78:79], v[48:49], -v[52:53]
	v_add_f64 v[78:79], v[78:79], v[94:95]
	ds_read_b128 v[94:97], v143 offset:624
	s_waitcnt lgkmcnt(0)
	v_fma_f64 v[98:99], v[98:99], -0.5, v[94:95]
	v_fma_f64 v[105:106], v[105:106], -0.5, v[96:97]
	v_fma_f64 v[118:119], v[126:127], s[0:1], v[98:99]
	v_fma_f64 v[120:121], v[130:131], s[4:5], v[105:106]
	;; [unrolled: 1-line block ×12, first 2 shown]
	v_add_f64 v[62:63], v[50:51], v[64:65]
	v_add_f64 v[78:79], v[48:49], v[60:61]
	v_add_f64 v[98:99], v[54:55], -v[50:51]
	v_fma_f64 v[62:63], v[62:63], -0.5, v[94:95]
	v_fma_f64 v[78:79], v[78:79], -0.5, v[96:97]
	v_add_f64 v[94:95], v[94:95], v[50:51]
	v_add_f64 v[96:97], v[96:97], v[48:49]
	;; [unrolled: 1-line block ×4, first 2 shown]
	v_add_f64 v[52:53], v[52:53], -v[48:49]
	v_add_f64 v[48:49], v[50:51], v[58:59]
	v_add_f64 v[50:51], v[54:55], v[56:57]
	v_add_f64 v[54:55], v[58:59], -v[64:65]
	v_add_f64 v[56:57], v[56:57], -v[60:61]
	v_fma_f64 v[58:59], v[128:129], s[4:5], v[62:63]
	v_add_f64 v[48:49], v[48:49], v[64:65]
	v_add_f64 v[50:51], v[50:51], v[60:61]
	v_fma_f64 v[60:61], v[128:129], s[0:1], v[62:63]
	v_fma_f64 v[62:63], v[140:141], s[0:1], v[78:79]
	;; [unrolled: 1-line block ×3, first 2 shown]
	v_add_f64 v[78:79], v[98:99], v[54:55]
	v_add_f64 v[94:95], v[52:53], v[56:57]
	v_fma_f64 v[52:53], v[126:127], s[12:13], v[58:59]
	v_add_f64 v[140:141], v[28:29], -v[26:27]
	v_fma_f64 v[56:57], v[126:127], s[14:15], v[60:61]
	v_fma_f64 v[54:55], v[130:131], s[14:15], v[62:63]
	;; [unrolled: 1-line block ×3, first 2 shown]
	v_mul_u32_u24_sdwa v60, v87, v101 dst_sel:DWORD dst_unused:UNUSED_PAD src0_sel:WORD_0 src1_sel:DWORD
	v_add_f64 v[64:65], v[24:25], -v[36:37]
	v_fma_f64 v[52:53], v[78:79], s[16:17], v[52:53]
	v_add_f64 v[130:131], v[22:23], -v[38:39]
	v_add_nc_u32_sdwa v60, v60, v89 dst_sel:DWORD dst_unused:UNUSED_PAD src0_sel:DWORD src1_sel:BYTE_0
	v_lshl_add_u32 v87, v60, 4, v142
	v_fma_f64 v[56:57], v[78:79], s[16:17], v[56:57]
	v_fma_f64 v[54:55], v[94:95], s[16:17], v[54:55]
	;; [unrolled: 1-line block ×3, first 2 shown]
	ds_read_b128 v[60:63], v143 offset:1248
	ds_read_b128 v[94:97], v143 offset:1872
	;; [unrolled: 1-line block ×3, first 2 shown]
	s_waitcnt lgkmcnt(0)
	s_waitcnt_vscnt null, 0x0
	s_barrier
	buffer_gl0_inv
	ds_write_b128 v87, v[66:69]
	v_add_f64 v[66:67], v[46:47], -v[30:31]
	ds_write_b128 v87, v[110:113] offset:208
	ds_write_b128 v87, v[70:73] offset:416
	;; [unrolled: 1-line block ×3, first 2 shown]
	buffer_store_dword v87, off, s[48:51], 0 offset:292 ; 4-byte Folded Spill
	ds_write_b128 v87, v[114:117] offset:832
	v_add_f64 v[68:69], v[64:65], v[66:67]
	v_add_f64 v[64:65], v[22:23], -v[28:29]
	v_add_f64 v[66:67], v[38:39], -v[26:27]
	v_add_f64 v[78:79], v[64:65], v[66:67]
	v_add_f64 v[64:65], v[36:37], v[30:31]
	v_fma_f64 v[98:99], v[64:65], -0.5, v[60:61]
	v_add_f64 v[64:65], v[28:29], v[26:27]
	v_fma_f64 v[105:106], v[64:65], -0.5, v[62:63]
	v_fma_f64 v[64:65], v[130:131], s[0:1], v[98:99]
	v_fma_f64 v[98:99], v[130:131], s[4:5], v[98:99]
	;; [unrolled: 1-line block ×10, first 2 shown]
	v_add_f64 v[68:69], v[24:25], v[46:47]
	v_add_f64 v[98:99], v[36:37], -v[24:25]
	v_fma_f64 v[66:67], v[78:79], s[16:17], v[66:67]
	v_fma_f64 v[146:147], v[78:79], s[16:17], v[105:106]
	v_add_f64 v[78:79], v[22:23], v[38:39]
	v_add_f64 v[105:106], v[8:9], -v[18:19]
	v_fma_f64 v[68:69], v[68:69], -0.5, v[60:61]
	v_add_f64 v[60:61], v[60:61], v[24:25]
	v_fma_f64 v[78:79], v[78:79], -0.5, v[62:63]
	v_add_f64 v[62:63], v[62:63], v[22:23]
	v_add_f64 v[24:25], v[60:61], v[36:37]
	v_fma_f64 v[60:61], v[150:151], s[4:5], v[78:79]
	v_add_f64 v[36:37], v[62:63], v[28:29]
	v_add_f64 v[28:29], v[28:29], -v[22:23]
	v_add_f64 v[22:23], v[24:25], v[30:31]
	v_add_f64 v[30:31], v[30:31], -v[46:47]
	;; [unrolled: 2-line block ×3, first 2 shown]
	v_fma_f64 v[36:37], v[140:141], s[4:5], v[68:69]
	v_add_f64 v[22:23], v[22:23], v[46:47]
	v_fma_f64 v[46:47], v[150:151], s[0:1], v[78:79]
	v_add_f64 v[30:31], v[98:99], v[30:31]
	v_add_f64 v[78:79], v[12:13], -v[14:15]
	v_add_f64 v[24:25], v[24:25], v[38:39]
	v_fma_f64 v[38:39], v[140:141], s[0:1], v[68:69]
	v_add_f64 v[62:63], v[28:29], v[26:27]
	v_fma_f64 v[26:27], v[130:131], s[12:13], v[36:37]
	v_fma_f64 v[28:29], v[148:149], s[14:15], v[46:47]
	v_add_f64 v[46:47], v[12:13], v[14:15]
	v_add_f64 v[68:69], v[6:7], -v[20:21]
	v_fma_f64 v[36:37], v[130:131], s[14:15], v[38:39]
	v_fma_f64 v[38:39], v[148:149], s[12:13], v[60:61]
	;; [unrolled: 1-line block ×4, first 2 shown]
	v_fma_f64 v[46:47], v[46:47], -0.5, v[96:97]
	v_add_f64 v[130:131], v[10:11], -v[16:17]
	v_fma_f64 v[60:61], v[30:31], s[16:17], v[36:37]
	v_add_f64 v[30:31], v[8:9], -v[10:11]
	v_add_f64 v[36:37], v[18:19], -v[16:17]
	v_fma_f64 v[62:63], v[62:63], s[16:17], v[38:39]
	v_add_f64 v[38:39], v[20:21], -v[14:15]
	v_fma_f64 v[140:141], v[105:106], s[4:5], v[46:47]
	v_fma_f64 v[46:47], v[105:106], s[0:1], v[46:47]
	v_add_f64 v[30:31], v[30:31], v[36:37]
	v_add_f64 v[36:37], v[6:7], -v[12:13]
	v_fma_f64 v[140:141], v[130:131], s[14:15], v[140:141]
	v_fma_f64 v[46:47], v[130:131], s[12:13], v[46:47]
	v_add_f64 v[36:37], v[36:37], v[38:39]
	v_add_f64 v[38:39], v[10:11], v[16:17]
	v_fma_f64 v[157:158], v[36:37], s[16:17], v[46:47]
	v_fma_f64 v[38:39], v[38:39], -0.5, v[94:95]
	v_add_f64 v[46:47], v[96:97], v[6:7]
	v_fma_f64 v[150:151], v[36:37], s[16:17], v[140:141]
	v_add_f64 v[36:37], v[6:7], v[20:21]
	v_fma_f64 v[98:99], v[68:69], s[0:1], v[38:39]
	v_fma_f64 v[38:39], v[68:69], s[4:5], v[38:39]
	v_fma_f64 v[36:37], v[36:37], -0.5, v[96:97]
	v_add_f64 v[96:97], v[4:5], -v[44:45]
	v_fma_f64 v[98:99], v[78:79], s[12:13], v[98:99]
	v_fma_f64 v[38:39], v[78:79], s[14:15], v[38:39]
	;; [unrolled: 1-line block ×4, first 2 shown]
	v_add_f64 v[30:31], v[8:9], v[18:19]
	v_add_f64 v[38:39], v[94:95], v[8:9]
	v_add_f64 v[98:99], v[126:127], v[2:3]
	v_fma_f64 v[30:31], v[30:31], -0.5, v[94:95]
	v_add_f64 v[94:95], v[10:11], -v[8:9]
	v_add_f64 v[8:9], v[38:39], v[10:11]
	v_add_f64 v[10:11], v[46:47], v[12:13]
	v_add_f64 v[12:13], v[12:13], -v[6:7]
	v_add_f64 v[6:7], v[8:9], v[16:17]
	v_add_f64 v[8:9], v[10:11], v[14:15]
	v_add_f64 v[10:11], v[16:17], -v[18:19]
	v_add_f64 v[14:15], v[14:15], -v[20:21]
	v_fma_f64 v[16:17], v[78:79], s[4:5], v[30:31]
	v_add_f64 v[6:7], v[6:7], v[18:19]
	v_add_f64 v[8:9], v[8:9], v[20:21]
	v_fma_f64 v[18:19], v[78:79], s[0:1], v[30:31]
	v_fma_f64 v[20:21], v[130:131], s[0:1], v[36:37]
	v_fma_f64 v[30:31], v[130:131], s[4:5], v[36:37]
	v_add_f64 v[38:39], v[12:13], v[14:15]
	v_add_f64 v[36:37], v[94:95], v[10:11]
	v_fma_f64 v[10:11], v[68:69], s[12:13], v[16:17]
	v_add_f64 v[78:79], v[40:41], -v[42:43]
	v_add_f64 v[94:95], v[2:3], -v[80:81]
	v_fma_f64 v[14:15], v[68:69], s[14:15], v[18:19]
	v_fma_f64 v[12:13], v[105:106], s[14:15], v[20:21]
	v_add_f64 v[18:19], v[2:3], -v[4:5]
	v_add_f64 v[20:21], v[80:81], -v[44:45]
	v_fma_f64 v[16:17], v[105:106], s[12:13], v[30:31]
	v_fma_f64 v[10:11], v[36:37], s[16:17], v[10:11]
	v_add_f64 v[68:69], v[0:1], -v[82:83]
	v_add_f64 v[105:106], v[128:129], v[0:1]
	v_fma_f64 v[14:15], v[36:37], s[16:17], v[14:15]
	v_fma_f64 v[12:13], v[38:39], s[16:17], v[12:13]
	v_add_f64 v[30:31], v[18:19], v[20:21]
	v_add_f64 v[18:19], v[0:1], -v[40:41]
	v_add_f64 v[20:21], v[82:83], -v[42:43]
	v_fma_f64 v[16:17], v[38:39], s[16:17], v[16:17]
	v_add_f64 v[38:39], v[18:19], v[20:21]
	v_add_f64 v[18:19], v[4:5], v[44:45]
	v_fma_f64 v[36:37], v[18:19], -0.5, v[126:127]
	v_add_f64 v[18:19], v[40:41], v[42:43]
	v_fma_f64 v[46:47], v[18:19], -0.5, v[128:129]
	v_fma_f64 v[18:19], v[68:69], s[0:1], v[36:37]
	v_fma_f64 v[36:37], v[68:69], s[4:5], v[36:37]
	;; [unrolled: 1-line block ×9, first 2 shown]
	v_add_f64 v[30:31], v[2:3], v[80:81]
	v_fma_f64 v[46:47], v[96:97], s[12:13], v[46:47]
	v_fma_f64 v[20:21], v[38:39], s[16:17], v[20:21]
	v_fma_f64 v[30:31], v[30:31], -0.5, v[126:127]
	v_add_f64 v[126:127], v[4:5], -v[2:3]
	v_add_f64 v[2:3], v[98:99], v[4:5]
	v_add_f64 v[4:5], v[105:106], v[40:41]
	v_fma_f64 v[38:39], v[38:39], s[16:17], v[46:47]
	v_add_f64 v[46:47], v[0:1], v[82:83]
	v_add_f64 v[40:41], v[40:41], -v[0:1]
	v_add_co_ci_u32_e64 v105, null, 0, 0, s19
	v_add_f64 v[0:1], v[2:3], v[44:45]
	v_add_f64 v[2:3], v[4:5], v[42:43]
	v_add_f64 v[4:5], v[44:45], -v[80:81]
	v_add_f64 v[42:43], v[42:43], -v[82:83]
	v_fma_f64 v[44:45], v[78:79], s[4:5], v[30:31]
	v_fma_f64 v[30:31], v[78:79], s[0:1], v[30:31]
	v_fma_f64 v[46:47], v[46:47], -0.5, v[128:129]
	v_add_f64 v[0:1], v[0:1], v[80:81]
	v_add_f64 v[2:3], v[2:3], v[82:83]
	;; [unrolled: 1-line block ×4, first 2 shown]
	v_fma_f64 v[40:41], v[68:69], s[12:13], v[44:45]
	v_fma_f64 v[30:31], v[68:69], s[14:15], v[30:31]
	;; [unrolled: 1-line block ×4, first 2 shown]
	v_cmp_gt_u16_e64 s0, 13, v138
	v_fma_f64 v[40:41], v[4:5], s[16:17], v[40:41]
	v_fma_f64 v[44:45], v[4:5], s[16:17], v[30:31]
	v_mul_u32_u24_sdwa v4, v84, v101 dst_sel:DWORD dst_unused:UNUSED_PAD src0_sel:WORD_0 src1_sel:DWORD
	v_fma_f64 v[42:43], v[94:95], s[14:15], v[78:79]
	v_fma_f64 v[46:47], v[94:95], s[12:13], v[46:47]
	v_add_nc_u32_sdwa v4, v4, v85 dst_sel:DWORD dst_unused:UNUSED_PAD src0_sel:DWORD src1_sel:BYTE_0
	v_lshl_add_u32 v4, v4, 4, v142
	ds_write_b128 v4, v[48:51]
	ds_write_b128 v4, v[118:121] offset:208
	ds_write_b128 v4, v[52:55] offset:416
	;; [unrolled: 1-line block ×3, first 2 shown]
	buffer_store_dword v4, off, s[48:51], 0 offset:356 ; 4-byte Folded Spill
	ds_write_b128 v4, v[122:125] offset:832
	v_mul_u32_u24_sdwa v4, v86, v101 dst_sel:DWORD dst_unused:UNUSED_PAD src0_sel:WORD_0 src1_sel:DWORD
	v_add_nc_u32_sdwa v4, v4, v88 dst_sel:DWORD dst_unused:UNUSED_PAD src0_sel:DWORD src1_sel:BYTE_0
	v_fma_f64 v[42:43], v[80:81], s[16:17], v[42:43]
	v_fma_f64 v[46:47], v[80:81], s[16:17], v[46:47]
                                        ; implicit-def: $vgpr80_vgpr81
	v_lshl_add_u32 v4, v4, 4, v142
	ds_write_b128 v4, v[22:25]
	ds_write_b128 v4, v[64:67] offset:208
	ds_write_b128 v4, v[26:29] offset:416
	;; [unrolled: 1-line block ×3, first 2 shown]
	buffer_store_dword v4, off, s[48:51], 0 offset:304 ; 4-byte Folded Spill
	ds_write_b128 v4, v[144:147] offset:832
	v_mul_u32_u24_sdwa v4, v90, v101 dst_sel:DWORD dst_unused:UNUSED_PAD src0_sel:WORD_0 src1_sel:DWORD
	v_add_nc_u32_sdwa v4, v4, v91 dst_sel:DWORD dst_unused:UNUSED_PAD src0_sel:DWORD src1_sel:BYTE_0
	v_lshl_add_u32 v4, v4, 4, v142
	ds_write_b128 v4, v[6:9]
	ds_write_b128 v4, v[148:151] offset:208
	ds_write_b128 v4, v[10:13] offset:416
	;; [unrolled: 1-line block ×3, first 2 shown]
	buffer_store_dword v4, off, s[48:51], 0 offset:300 ; 4-byte Folded Spill
	ds_write_b128 v4, v[155:158] offset:832
	v_mul_u32_u24_sdwa v4, v92, v101 dst_sel:DWORD dst_unused:UNUSED_PAD src0_sel:WORD_0 src1_sel:DWORD
	v_add_co_ci_u32_e64 v101, null, 0, 0, s20
	v_add_nc_u32_sdwa v4, v4, v93 dst_sel:DWORD dst_unused:UNUSED_PAD src0_sel:DWORD src1_sel:BYTE_0
	v_lshl_add_u32 v4, v4, 4, v142
	ds_write_b128 v4, v[0:3]
	ds_write_b128 v4, v[18:21] offset:208
	ds_write_b128 v4, v[40:43] offset:416
	;; [unrolled: 1-line block ×3, first 2 shown]
	buffer_store_dword v4, off, s[48:51], 0 offset:296 ; 4-byte Folded Spill
	ds_write_b128 v4, v[36:39] offset:832
	s_waitcnt lgkmcnt(0)
	s_waitcnt_vscnt null, 0x0
	s_barrier
	buffer_gl0_inv
	ds_read_b128 v[68:71], v143
	ds_read_b128 v[56:59], v143 offset:624
	ds_read_b128 v[92:95], v143 offset:5200
	;; [unrolled: 1-line block ×23, first 2 shown]
	s_and_saveexec_b32 s1, s0
	s_cbranch_execz .LBB0_9
; %bb.8:
	ds_read_b128 v[36:39], v143 offset:4992
	ds_read_b128 v[32:35], v143 offset:10192
	;; [unrolled: 1-line block ×3, first 2 shown]
.LBB0_9:
	s_or_b32 exec_lo, exec_lo, s1
	v_lshlrev_b64 v[106:107], 5, v[138:139]
	s_mov_b32 s13, 0xbfebb67a
	v_add_co_u32 v106, s1, s2, v106
	v_add_co_ci_u32_e64 v107, s1, s3, v107, s1
	v_cmp_gt_u16_e64 s1, 26, v138
	global_load_dwordx4 v[112:115], v[106:107], off offset:832
	s_waitcnt vmcnt(0) lgkmcnt(21)
	v_mul_f64 v[110:111], v[94:95], v[114:115]
	v_fma_f64 v[110:111], v[92:93], v[112:113], -v[110:111]
	v_mul_f64 v[92:93], v[92:93], v[114:115]
	buffer_store_dword v112, off, s[48:51], 0 offset:536 ; 4-byte Folded Spill
	buffer_store_dword v113, off, s[48:51], 0 offset:540 ; 4-byte Folded Spill
	;; [unrolled: 1-line block ×4, first 2 shown]
	s_clause 0x2
	global_load_dwordx4 v[228:231], v[106:107], off offset:1264
	global_load_dwordx4 v[236:239], v[106:107], off offset:848
	;; [unrolled: 1-line block ×3, first 2 shown]
	v_fma_f64 v[92:93], v[94:95], v[112:113], v[92:93]
	s_waitcnt vmcnt(2) lgkmcnt(13)
	v_mul_f64 v[106:107], v[98:99], v[230:231]
	s_waitcnt vmcnt(1)
	v_mul_f64 v[94:95], v[126:127], v[238:239]
	s_waitcnt vmcnt(0)
	v_mul_f64 v[114:115], v[122:123], v[234:235]
	v_mul_f64 v[116:117], v[120:121], v[234:235]
	;; [unrolled: 1-line block ×3, first 2 shown]
	v_fma_f64 v[106:107], v[96:97], v[228:229], -v[106:107]
	v_mul_f64 v[96:97], v[96:97], v[230:231]
	v_fma_f64 v[114:115], v[120:121], v[232:233], -v[114:115]
	v_fma_f64 v[116:117], v[122:123], v[232:233], v[116:117]
	v_fma_f64 v[94:95], v[124:125], v[236:237], -v[94:95]
	v_fma_f64 v[112:113], v[126:127], v[236:237], v[112:113]
	v_fma_f64 v[96:97], v[98:99], v[228:229], v[96:97]
	v_add_co_u32 v98, s4, 0xffffffe6, v138
	v_add_co_ci_u32_e64 v99, null, 0, -1, s4
	s_mov_b32 s4, 0xe8584caa
	v_cndmask_b32_e64 v118, v98, v134, s1
	s_mov_b32 s5, 0x3febb67a
	v_cndmask_b32_e64 v119, v99, v135, s1
	s_mov_b32 s12, s4
	v_lshlrev_b64 v[98:99], 5, v[118:119]
	v_add_co_u32 v98, s1, s2, v98
	v_add_co_ci_u32_e64 v99, s1, s3, v99, s1
	global_load_dwordx4 v[244:247], v[98:99], off offset:832
	s_waitcnt vmcnt(0)
	v_mul_f64 v[119:120], v[10:11], v[246:247]
	v_fma_f64 v[119:120], v[8:9], v[244:245], -v[119:120]
	v_mul_f64 v[8:9], v[8:9], v[246:247]
	v_fma_f64 v[121:122], v[10:11], v[244:245], v[8:9]
	global_load_dwordx4 v[8:11], v[98:99], off offset:848
	s_waitcnt vmcnt(0)
	v_mul_f64 v[98:99], v[90:91], v[10:11]
	v_fma_f64 v[98:99], v[88:89], v[8:9], -v[98:99]
	v_mul_f64 v[88:89], v[88:89], v[10:11]
	v_fma_f64 v[123:124], v[90:91], v[8:9], v[88:89]
	v_mul_lo_u16 v88, 0xfd, v108
	v_lshrrev_b16 v135, 14, v88
	v_mul_lo_u16 v88, 0x41, v135
	v_sub_nc_u16 v175, v104, v88
	v_mov_b32_e32 v88, 5
	v_lshlrev_b32_sdwa v90, v88, v175 dst_sel:DWORD dst_unused:UNUSED_PAD src0_sel:DWORD src1_sel:BYTE_0
	s_clause 0x1
	global_load_dwordx4 v[252:255], v90, s[2:3] offset:832
	global_load_dwordx4 v[248:251], v90, s[2:3] offset:848
	s_waitcnt vmcnt(1)
	v_mul_f64 v[88:89], v[86:87], v[254:255]
	v_fma_f64 v[125:126], v[84:85], v[252:253], -v[88:89]
	v_mul_f64 v[84:85], v[84:85], v[254:255]
	v_mov_b32_e32 v88, 0xfc1
	v_fma_f64 v[127:128], v[86:87], v[252:253], v[84:85]
	s_waitcnt vmcnt(0) lgkmcnt(12)
	v_mul_f64 v[84:85], v[6:7], v[250:251]
	v_fma_f64 v[129:130], v[4:5], v[248:249], -v[84:85]
	v_mul_f64 v[4:5], v[4:5], v[250:251]
	v_fma_f64 v[139:140], v[6:7], v[248:249], v[4:5]
	v_mul_lo_u16 v4, 0xfd, v109
	v_lshrrev_b16 v4, 14, v4
	v_mul_lo_u16 v4, 0x41, v4
	v_sub_nc_u16 v4, v100, v4
	v_and_b32_e32 v176, 0xff, v4
	v_lshlrev_b32_e32 v86, 5, v176
	global_load_dwordx4 v[4:7], v86, s[2:3] offset:832
	s_waitcnt vmcnt(0) lgkmcnt(9)
	v_mul_f64 v[84:85], v[2:3], v[6:7]
	v_fma_f64 v[141:142], v[0:1], v[4:5], -v[84:85]
	v_mul_f64 v[0:1], v[0:1], v[6:7]
	v_fma_f64 v[144:145], v[2:3], v[4:5], v[0:1]
	global_load_dwordx4 v[0:3], v86, s[2:3] offset:848
	s_waitcnt vmcnt(0) lgkmcnt(7)
	v_mul_f64 v[84:85], v[14:15], v[2:3]
	v_fma_f64 v[146:147], v[12:13], v[0:1], -v[84:85]
	v_mul_f64 v[12:13], v[12:13], v[2:3]
	v_fma_f64 v[148:149], v[14:15], v[0:1], v[12:13]
	v_add_nc_u16 v12, v138, 0xc3
	v_and_b32_e32 v13, 0xff, v12
	v_mul_lo_u16 v13, 0xfd, v13
	v_lshrrev_b16 v13, 14, v13
	v_mul_lo_u16 v13, 0x41, v13
	v_sub_nc_u16 v12, v12, v13
	v_and_b32_e32 v177, 0xff, v12
	v_lshlrev_b32_e32 v86, 5, v177
	global_load_dwordx4 v[12:15], v86, s[2:3] offset:832
	s_waitcnt vmcnt(0)
	v_mul_f64 v[84:85], v[18:19], v[14:15]
	v_fma_f64 v[150:151], v[16:17], v[12:13], -v[84:85]
	v_mul_f64 v[16:17], v[16:17], v[14:15]
	v_fma_f64 v[152:153], v[18:19], v[12:13], v[16:17]
	global_load_dwordx4 v[16:19], v86, s[2:3] offset:848
	s_waitcnt vmcnt(0) lgkmcnt(6)
	v_mul_f64 v[84:85], v[26:27], v[18:19]
	v_fma_f64 v[155:156], v[24:25], v[16:17], -v[84:85]
	v_mul_f64 v[24:25], v[24:25], v[18:19]
	v_fma_f64 v[157:158], v[26:27], v[16:17], v[24:25]
	v_add_co_u32 v24, null, 0xea, v138
	v_mul_u32_u24_sdwa v25, v24, v88 dst_sel:DWORD dst_unused:UNUSED_PAD src0_sel:WORD_0 src1_sel:DWORD
	v_lshrrev_b32_e32 v178, 18, v25
	v_mul_lo_u16 v25, 0x41, v178
	v_sub_nc_u16 v179, v24, v25
	v_lshlrev_b16 v24, 5, v179
	v_and_b32_e32 v24, 0xffff, v24
	v_add_co_u32 v84, s1, s2, v24
	v_add_co_ci_u32_e64 v85, null, s3, 0, s1
	global_load_dwordx4 v[24:27], v[84:85], off offset:832
	s_waitcnt vmcnt(0) lgkmcnt(3)
	v_mul_f64 v[86:87], v[22:23], v[26:27]
	v_fma_f64 v[159:160], v[20:21], v[24:25], -v[86:87]
	v_mul_f64 v[20:21], v[20:21], v[26:27]
	v_fma_f64 v[161:162], v[22:23], v[24:25], v[20:21]
	global_load_dwordx4 v[20:23], v[84:85], off offset:848
	s_waitcnt vmcnt(0) lgkmcnt(1)
	v_mul_f64 v[84:85], v[30:31], v[22:23]
	v_fma_f64 v[163:164], v[28:29], v[20:21], -v[84:85]
	v_mul_f64 v[28:29], v[28:29], v[22:23]
	v_fma_f64 v[165:166], v[30:31], v[20:21], v[28:29]
	v_add_nc_u32_e32 v28, 0x111, v138
	v_mul_u32_u24_sdwa v29, v28, v88 dst_sel:DWORD dst_unused:UNUSED_PAD src0_sel:WORD_0 src1_sel:DWORD
	v_lshrrev_b32_e32 v29, 18, v29
	v_mul_lo_u16 v29, 0x41, v29
	v_sub_nc_u16 v180, v28, v29
	v_lshlrev_b16 v28, 5, v180
	v_and_b32_e32 v28, 0xffff, v28
	v_add_co_u32 v84, s1, s2, v28
	v_add_co_ci_u32_e64 v85, null, s3, 0, s1
	s_clause 0x1
	global_load_dwordx4 v[28:31], v[84:85], off offset:832
	global_load_dwordx4 v[240:243], v[84:85], off offset:848
	s_waitcnt vmcnt(1)
	v_mul_f64 v[86:87], v[78:79], v[30:31]
	v_fma_f64 v[167:168], v[76:77], v[28:29], -v[86:87]
	v_mul_f64 v[76:77], v[76:77], v[30:31]
	v_fma_f64 v[169:170], v[78:79], v[28:29], v[76:77]
	s_waitcnt vmcnt(0) lgkmcnt(0)
	v_mul_f64 v[76:77], v[74:75], v[242:243]
	v_fma_f64 v[171:172], v[72:73], v[240:241], -v[76:77]
	v_mul_f64 v[72:73], v[72:73], v[242:243]
	v_fma_f64 v[173:174], v[74:75], v[240:241], v[72:73]
	v_add_nc_u32_e32 v72, 0x138, v138
	v_mul_u32_u24_sdwa v73, v72, v88 dst_sel:DWORD dst_unused:UNUSED_PAD src0_sel:WORD_0 src1_sel:DWORD
	v_add_f64 v[88:89], v[116:117], -v[96:97]
	v_lshrrev_b32_e32 v73, 18, v73
	v_mul_lo_u16 v73, 0x41, v73
	v_sub_nc_u16 v181, v72, v73
	v_lshlrev_b16 v72, 5, v181
	v_and_b32_e32 v72, 0xffff, v72
	v_add_co_u32 v74, s1, s2, v72
	v_add_co_ci_u32_e64 v75, null, s3, 0, s1
	v_cmp_lt_u16_e64 s1, 25, v138
	global_load_dwordx4 v[76:79], v[74:75], off offset:832
	s_waitcnt vmcnt(0)
	v_mul_f64 v[72:73], v[34:35], v[78:79]
	v_fma_f64 v[72:73], v[32:33], v[76:77], -v[72:73]
	v_mul_f64 v[32:33], v[32:33], v[78:79]
	buffer_store_dword v76, off, s[48:51], 0 offset:904 ; 4-byte Folded Spill
	buffer_store_dword v77, off, s[48:51], 0 offset:908 ; 4-byte Folded Spill
	;; [unrolled: 1-line block ×4, first 2 shown]
	global_load_dwordx4 v[84:87], v[74:75], off offset:848
	v_fma_f64 v[76:77], v[34:35], v[76:77], v[32:33]
	s_waitcnt vmcnt(0)
	v_mul_f64 v[32:33], v[82:83], v[86:87]
	v_fma_f64 v[74:75], v[80:81], v[84:85], -v[32:33]
	v_mul_f64 v[32:33], v[80:81], v[86:87]
	buffer_store_dword v84, off, s[48:51], 0 offset:920 ; 4-byte Folded Spill
	buffer_store_dword v85, off, s[48:51], 0 offset:924 ; 4-byte Folded Spill
	;; [unrolled: 1-line block ×4, first 2 shown]
	s_waitcnt_vscnt null, 0x0
	s_barrier
	buffer_gl0_inv
	v_fma_f64 v[78:79], v[82:83], v[84:85], v[32:33]
	v_add_f64 v[32:33], v[110:111], v[94:95]
	v_add_f64 v[84:85], v[110:111], -v[94:95]
	v_fma_f64 v[80:81], v[32:33], -0.5, v[68:69]
	v_add_f64 v[32:33], v[92:93], v[112:113]
	v_add_f64 v[68:69], v[68:69], v[110:111]
	v_add_f64 v[110:111], v[125:126], -v[129:130]
	v_fma_f64 v[82:83], v[32:33], -0.5, v[70:71]
	v_add_f64 v[32:33], v[70:71], v[92:93]
	v_add_f64 v[70:71], v[92:93], -v[112:113]
	v_add_f64 v[92:93], v[114:115], -v[106:107]
	v_add_f64 v[34:35], v[32:33], v[112:113]
	v_add_f64 v[32:33], v[68:69], v[94:95]
	v_fma_f64 v[68:69], v[70:71], s[4:5], v[80:81]
	v_fma_f64 v[80:81], v[70:71], s[12:13], v[80:81]
	;; [unrolled: 1-line block ×4, first 2 shown]
	v_add_f64 v[84:85], v[114:115], v[106:107]
	ds_write_b128 v143, v[32:35]
	v_add_f64 v[32:33], v[119:120], v[98:99]
	ds_write_b128 v143, v[68:71] offset:1040
	ds_write_b128 v143, v[80:83] offset:2080
	v_cndmask_b32_e64 v68, 0, 0xc3, s1
	v_fma_f64 v[86:87], v[84:85], -0.5, v[64:65]
	v_add_f64 v[84:85], v[116:117], v[96:97]
	v_add_f64 v[64:65], v[64:65], v[114:115]
	v_add_f64 v[70:71], v[152:153], -v[157:158]
	v_add_nc_u32_e32 v68, v118, v68
	v_add_f64 v[114:115], v[144:145], -v[148:149]
	v_add_f64 v[82:83], v[150:151], -v[155:156]
	v_fma_f64 v[90:91], v[84:85], -0.5, v[66:67]
	v_add_f64 v[66:67], v[66:67], v[116:117]
	v_fma_f64 v[84:85], v[88:89], s[4:5], v[86:87]
	v_fma_f64 v[88:89], v[88:89], s[12:13], v[86:87]
	v_add_f64 v[64:65], v[64:65], v[106:107]
	v_add_f64 v[106:107], v[127:128], -v[139:140]
	v_fma_f64 v[86:87], v[92:93], s[12:13], v[90:91]
	v_fma_f64 v[90:91], v[92:93], s[4:5], v[90:91]
	v_fma_f64 v[92:93], v[32:33], -0.5, v[56:57]
	v_add_f64 v[32:33], v[121:122], v[123:124]
	v_add_f64 v[66:67], v[66:67], v[96:97]
	;; [unrolled: 1-line block ×3, first 2 shown]
	v_add_f64 v[96:97], v[119:120], -v[98:99]
	v_add_f64 v[119:120], v[141:142], -v[146:147]
	v_fma_f64 v[94:95], v[32:33], -0.5, v[58:59]
	v_add_f64 v[32:33], v[58:59], v[121:122]
	v_add_f64 v[58:59], v[121:122], -v[123:124]
	v_add_f64 v[34:35], v[32:33], v[123:124]
	v_add_f64 v[32:33], v[56:57], v[98:99]
	v_fma_f64 v[56:57], v[58:59], s[4:5], v[92:93]
	v_fma_f64 v[92:93], v[58:59], s[12:13], v[92:93]
	;; [unrolled: 1-line block ×4, first 2 shown]
	v_add_f64 v[96:97], v[125:126], v[129:130]
	v_fma_f64 v[98:99], v[96:97], -0.5, v[60:61]
	v_add_f64 v[96:97], v[127:128], v[139:140]
	v_add_f64 v[60:61], v[60:61], v[125:126]
	v_add_f64 v[124:125], v[159:160], -v[163:164]
	v_fma_f64 v[108:109], v[96:97], -0.5, v[62:63]
	v_fma_f64 v[96:97], v[106:107], s[4:5], v[98:99]
	v_fma_f64 v[106:107], v[106:107], s[12:13], v[98:99]
	v_add_f64 v[62:63], v[62:63], v[127:128]
	v_add_f64 v[60:61], v[60:61], v[129:130]
	v_add_f64 v[128:129], v[169:170], -v[173:174]
	v_add_f64 v[130:131], v[167:168], -v[171:172]
	v_fma_f64 v[98:99], v[110:111], s[12:13], v[108:109]
	v_fma_f64 v[108:109], v[110:111], s[4:5], v[108:109]
	v_add_f64 v[110:111], v[141:142], v[146:147]
	v_add_f64 v[62:63], v[62:63], v[139:140]
	v_fma_f64 v[112:113], v[110:111], -0.5, v[52:53]
	v_add_f64 v[52:53], v[52:53], v[141:142]
	v_add_f64 v[110:111], v[144:145], v[148:149]
	;; [unrolled: 1-line block ×3, first 2 shown]
	v_lshlrev_b32_e32 v146, 4, v133
	v_fma_f64 v[116:117], v[110:111], -0.5, v[54:55]
	v_fma_f64 v[110:111], v[114:115], s[4:5], v[112:113]
	v_fma_f64 v[114:115], v[114:115], s[12:13], v[112:113]
	v_add_f64 v[54:55], v[54:55], v[144:145]
	v_lshl_add_u32 v182, v68, 4, v146
	v_add_f64 v[144:145], v[76:77], -v[78:79]
	ds_write_b128 v182, v[32:35]
	v_add_f64 v[32:33], v[150:151], v[155:156]
	v_add_f64 v[34:35], v[152:153], v[157:158]
	v_fma_f64 v[112:113], v[119:120], s[12:13], v[116:117]
	v_fma_f64 v[116:117], v[119:120], s[4:5], v[116:117]
	v_add_f64 v[120:121], v[161:162], -v[165:166]
	v_add_f64 v[54:55], v[54:55], v[148:149]
	v_fma_f64 v[32:33], v[32:33], -0.5, v[48:49]
	v_fma_f64 v[34:35], v[34:35], -0.5, v[50:51]
	v_add_f64 v[48:49], v[48:49], v[150:151]
	v_add_f64 v[50:51], v[50:51], v[152:153]
	v_fma_f64 v[68:69], v[70:71], s[4:5], v[32:33]
	v_fma_f64 v[80:81], v[70:71], s[12:13], v[32:33]
	v_add_f64 v[32:33], v[159:160], v[163:164]
	v_fma_f64 v[70:71], v[82:83], s[12:13], v[34:35]
	v_fma_f64 v[82:83], v[82:83], s[4:5], v[34:35]
	v_add_f64 v[34:35], v[161:162], v[165:166]
	v_add_f64 v[50:51], v[50:51], v[157:158]
	v_add_f64 v[48:49], v[48:49], v[155:156]
	v_fma_f64 v[32:33], v[32:33], -0.5, v[44:45]
	v_add_f64 v[44:45], v[44:45], v[159:160]
	v_fma_f64 v[34:35], v[34:35], -0.5, v[46:47]
	v_add_f64 v[46:47], v[46:47], v[161:162]
	v_fma_f64 v[118:119], v[120:121], s[4:5], v[32:33]
	v_fma_f64 v[122:123], v[120:121], s[12:13], v[32:33]
	v_add_f64 v[32:33], v[167:168], v[171:172]
	v_fma_f64 v[120:121], v[124:125], s[12:13], v[34:35]
	v_fma_f64 v[124:125], v[124:125], s[4:5], v[34:35]
	v_add_f64 v[34:35], v[169:170], v[173:174]
	v_add_f64 v[46:47], v[46:47], v[165:166]
	;; [unrolled: 1-line block ×3, first 2 shown]
	v_fma_f64 v[32:33], v[32:33], -0.5, v[40:41]
	v_add_f64 v[40:41], v[40:41], v[167:168]
	v_fma_f64 v[34:35], v[34:35], -0.5, v[42:43]
	v_add_f64 v[42:43], v[42:43], v[169:170]
	v_fma_f64 v[126:127], v[128:129], s[4:5], v[32:33]
	v_fma_f64 v[139:140], v[128:129], s[12:13], v[32:33]
	v_add_f64 v[32:33], v[72:73], v[74:75]
	v_fma_f64 v[128:129], v[130:131], s[12:13], v[34:35]
	v_fma_f64 v[141:142], v[130:131], s[4:5], v[34:35]
	v_add_f64 v[42:43], v[42:43], v[173:174]
	v_add_f64 v[40:41], v[40:41], v[171:172]
	v_fma_f64 v[34:35], v[32:33], -0.5, v[36:37]
	v_add_f64 v[32:33], v[76:77], v[78:79]
	v_fma_f64 v[147:148], v[144:145], s[12:13], v[34:35]
	v_fma_f64 v[130:131], v[32:33], -0.5, v[38:39]
	v_fma_f64 v[32:33], v[144:145], s[4:5], v[34:35]
	v_add_f64 v[144:145], v[72:73], -v[74:75]
	v_fma_f64 v[149:150], v[144:145], s[4:5], v[130:131]
	buffer_store_dword v147, off, s[48:51], 0 offset:12 ; 4-byte Folded Spill
	buffer_store_dword v148, off, s[48:51], 0 offset:16 ; 4-byte Folded Spill
	;; [unrolled: 1-line block ×4, first 2 shown]
	ds_write_b128 v182, v[56:59] offset:1040
	v_mov_b32_e32 v56, 0xc3
	buffer_store_dword v182, off, s[48:51], 0 offset:652 ; 4-byte Folded Spill
	ds_write_b128 v182, v[92:95] offset:2080
	ds_write_b128 v143, v[64:67] offset:3328
	;; [unrolled: 1-line block ×4, first 2 shown]
	v_fma_f64 v[34:35], v[144:145], s[12:13], v[130:131]
	v_mul_u32_u24_sdwa v56, v135, v56 dst_sel:DWORD dst_unused:UNUSED_PAD src0_sel:WORD_0 src1_sel:DWORD
	v_add_nc_u32_sdwa v56, v56, v175 dst_sel:DWORD dst_unused:UNUSED_PAD src0_sel:DWORD src1_sel:BYTE_0
	v_lshl_add_u32 v56, v56, 4, v146
	ds_write_b128 v56, v[60:63]
	ds_write_b128 v56, v[96:99] offset:1040
	buffer_store_dword v56, off, s[48:51], 0 offset:688 ; 4-byte Folded Spill
	ds_write_b128 v56, v[106:109] offset:2080
	v_lshl_add_u32 v56, v176, 4, v146
	ds_write_b128 v56, v[52:55] offset:6240
	v_lshl_add_u32 v52, v177, 4, v146
	ds_write_b128 v52, v[48:51] offset:9360
	ds_write_b128 v56, v[110:113] offset:7280
	v_mad_u16 v48, 0xc3, v178, v179
	buffer_store_dword v56, off, s[48:51], 0 offset:684 ; 4-byte Folded Spill
	ds_write_b128 v56, v[114:117] offset:8320
	ds_write_b128 v52, v[68:71] offset:10400
	buffer_store_dword v52, off, s[48:51], 0 offset:680 ; 4-byte Folded Spill
	ds_write_b128 v52, v[80:83] offset:11440
	v_and_b32_e32 v48, 0xffff, v48
	v_lshl_add_u32 v48, v48, 4, v146
	ds_write_b128 v48, v[44:47]
	ds_write_b128 v48, v[118:121] offset:1040
	v_and_b32_e32 v44, 0xffff, v180
	ds_write_b128 v48, v[122:125] offset:2080
	buffer_store_dword v48, off, s[48:51], 0 offset:676 ; 4-byte Folded Spill
	v_lshl_add_u32 v44, v44, 4, v146
	ds_write_b128 v44, v[40:43] offset:12480
	v_and_b32_e32 v40, 0xffff, v181
	ds_write_b128 v44, v[126:129] offset:13520
	buffer_store_dword v44, off, s[48:51], 0 offset:656 ; 4-byte Folded Spill
	ds_write_b128 v44, v[139:142] offset:14560
	buffer_store_dword v40, off, s[48:51], 0 offset:648 ; 4-byte Folded Spill
	s_and_saveexec_b32 s1, s0
	s_cbranch_execz .LBB0_11
; %bb.10:
	buffer_load_dword v41, off, s[48:51], 0 offset:648 ; 4-byte Folded Reload
	v_add_f64 v[38:39], v[38:39], v[76:77]
	v_add_f64 v[36:37], v[36:37], v[72:73]
	v_lshlrev_b32_e32 v40, 4, v133
	v_add_f64 v[38:39], v[38:39], v[78:79]
	v_add_f64 v[36:37], v[36:37], v[74:75]
	s_waitcnt vmcnt(0)
	v_lshl_add_u32 v40, v41, 4, v40
	ds_write_b128 v40, v[32:35] offset:13520
	ds_write_b128 v40, v[36:39] offset:12480
	s_clause 0x3
	buffer_load_dword v36, off, s[48:51], 0 offset:12
	buffer_load_dword v37, off, s[48:51], 0 offset:16
	;; [unrolled: 1-line block ×4, first 2 shown]
	s_waitcnt vmcnt(0)
	ds_write_b128 v40, v[36:39] offset:14560
.LBB0_11:
	s_or_b32 exec_lo, exec_lo, s1
	v_lshlrev_b32_e32 v36, 6, v138
	s_waitcnt lgkmcnt(0)
	s_waitcnt_vscnt null, 0x0
	s_barrier
	buffer_gl0_inv
	v_lshlrev_b32_e32 v40, 6, v134
	v_add_co_u32 v38, s1, s2, v36
	v_add_co_ci_u32_e64 v39, null, s3, 0, s1
	s_mov_b32 s4, 0x134454ff
	v_add_co_u32 v36, s1, 0x800, v38
	v_add_co_ci_u32_e64 v37, s1, 0, v39, s1
	v_add_co_u32 v38, s1, 0xb60, v38
	v_add_co_ci_u32_e64 v39, s1, 0, v39, s1
	global_load_dwordx4 v[88:91], v[36:37], off offset:864
	v_add_co_u32 v40, s1, s2, v40
	global_load_dwordx4 v[110:113], v[38:39], off offset:16
	v_add_co_ci_u32_e64 v41, null, s3, 0, s1
	v_add_co_u32 v36, s1, 0x800, v40
	global_load_dwordx4 v[114:117], v[38:39], off offset:32
	v_add_co_ci_u32_e64 v37, s1, 0, v41, s1
	s_clause 0x1
	global_load_dwordx4 v[128:131], v[38:39], off offset:48
	global_load_dwordx4 v[92:95], v[36:37], off offset:864
	v_add_co_u32 v36, s1, 0xb60, v40
	v_add_co_ci_u32_e64 v37, s1, 0, v41, s1
	s_clause 0x2
	global_load_dwordx4 v[124:127], v[36:37], off offset:16
	global_load_dwordx4 v[96:99], v[36:37], off offset:32
	;; [unrolled: 1-line block ×3, first 2 shown]
	v_lshlrev_b64 v[36:37], 6, v[102:103]
	s_mov_b32 s5, 0x3fee6f0e
	s_mov_b32 s13, 0xbfee6f0e
	;; [unrolled: 1-line block ×3, first 2 shown]
	v_add_co_u32 v38, s1, s2, v36
	v_add_co_ci_u32_e64 v39, s1, s3, v37, s1
	v_add_co_u32 v36, s1, 0x800, v38
	v_add_co_ci_u32_e64 v37, s1, 0, v39, s1
	;; [unrolled: 2-line block ×3, first 2 shown]
	s_clause 0x3
	global_load_dwordx4 v[144:147], v[36:37], off offset:864
	global_load_dwordx4 v[159:162], v[38:39], off offset:16
	;; [unrolled: 1-line block ×4, first 2 shown]
	v_lshlrev_b64 v[36:37], 6, v[104:105]
	v_add_co_u32 v118, s1, s2, v36
	v_add_co_ci_u32_e64 v119, s1, s3, v37, s1
	v_add_co_u32 v36, s1, 0x800, v118
	v_add_co_ci_u32_e64 v37, s1, 0, v119, s1
	global_load_dwordx4 v[139:142], v[36:37], off offset:864
	ds_read_b128 v[36:39], v143 offset:3120
	ds_read_b128 v[40:43], v143 offset:6240
	;; [unrolled: 1-line block ×8, first 2 shown]
	s_waitcnt vmcnt(12) lgkmcnt(7)
	v_mul_f64 v[56:57], v[38:39], v[90:91]
	v_mul_f64 v[58:59], v[36:37], v[90:91]
	s_waitcnt vmcnt(11) lgkmcnt(6)
	v_mul_f64 v[72:73], v[42:43], v[112:113]
	v_mul_f64 v[74:75], v[40:41], v[112:113]
	;; [unrolled: 3-line block ×5, first 2 shown]
	v_fma_f64 v[104:105], v[36:37], v[88:89], -v[56:57]
	buffer_store_dword v88, off, s[48:51], 0 offset:660 ; 4-byte Folded Spill
	buffer_store_dword v89, off, s[48:51], 0 offset:664 ; 4-byte Folded Spill
	;; [unrolled: 1-line block ×4, first 2 shown]
	v_fma_f64 v[108:109], v[40:41], v[110:111], -v[72:73]
	s_waitcnt vmcnt(7) lgkmcnt(2)
	v_mul_f64 v[72:73], v[62:63], v[126:127]
	v_fma_f64 v[102:103], v[38:39], v[88:89], v[58:59]
	ds_read_b128 v[36:39], v143 offset:4368
	buffer_store_dword v110, off, s[48:51], 0 offset:788 ; 4-byte Folded Spill
	buffer_store_dword v111, off, s[48:51], 0 offset:792 ; 4-byte Folded Spill
	;; [unrolled: 1-line block ×4, first 2 shown]
	v_fma_f64 v[112:113], v[44:45], v[114:115], -v[76:77]
	buffer_store_dword v114, off, s[48:51], 0 offset:772 ; 4-byte Folded Spill
	buffer_store_dword v115, off, s[48:51], 0 offset:776 ; 4-byte Folded Spill
	;; [unrolled: 1-line block ×4, first 2 shown]
	v_fma_f64 v[116:117], v[48:49], v[128:129], -v[80:81]
	buffer_store_dword v128, off, s[48:51], 0 offset:756 ; 4-byte Folded Spill
	buffer_store_dword v129, off, s[48:51], 0 offset:760 ; 4-byte Folded Spill
	buffer_store_dword v130, off, s[48:51], 0 offset:764 ; 4-byte Folded Spill
	buffer_store_dword v131, off, s[48:51], 0 offset:768 ; 4-byte Folded Spill
	s_waitcnt vmcnt(6) lgkmcnt(2)
	v_mul_f64 v[76:77], v[66:67], v[98:99]
	s_waitcnt vmcnt(5) lgkmcnt(1)
	v_mul_f64 v[48:49], v[70:71], v[122:123]
	v_fma_f64 v[58:59], v[52:53], v[92:93], -v[84:85]
	buffer_store_dword v92, off, s[48:51], 0 offset:724 ; 4-byte Folded Spill
	buffer_store_dword v93, off, s[48:51], 0 offset:728 ; 4-byte Folded Spill
	;; [unrolled: 1-line block ×4, first 2 shown]
	v_fma_f64 v[94:95], v[60:61], v[124:125], -v[72:73]
	s_waitcnt vmcnt(4) lgkmcnt(0)
	v_mul_f64 v[52:53], v[38:39], v[146:147]
	v_fma_f64 v[90:91], v[64:65], v[96:97], -v[76:77]
	v_add_f64 v[152:153], v[94:95], -v[90:91]
	v_fma_f64 v[106:107], v[42:43], v[110:111], v[74:75]
	v_mul_f64 v[74:75], v[60:61], v[126:127]
	ds_read_b128 v[40:43], v143 offset:7488
	buffer_store_dword v124, off, s[48:51], 0 offset:740 ; 4-byte Folded Spill
	buffer_store_dword v125, off, s[48:51], 0 offset:744 ; 4-byte Folded Spill
	;; [unrolled: 1-line block ×4, first 2 shown]
	v_fma_f64 v[110:111], v[46:47], v[114:115], v[78:79]
	v_mul_f64 v[78:79], v[64:65], v[98:99]
	ds_read_b128 v[44:47], v143 offset:10608
	buffer_store_dword v96, off, s[48:51], 0 offset:708 ; 4-byte Folded Spill
	buffer_store_dword v97, off, s[48:51], 0 offset:712 ; 4-byte Folded Spill
	buffer_store_dword v98, off, s[48:51], 0 offset:716 ; 4-byte Folded Spill
	buffer_store_dword v99, off, s[48:51], 0 offset:720 ; 4-byte Folded Spill
	v_fma_f64 v[114:115], v[50:51], v[128:129], v[82:83]
	v_mul_f64 v[50:51], v[68:69], v[122:123]
	v_fma_f64 v[98:99], v[68:69], v[120:121], -v[48:49]
	buffer_store_dword v120, off, s[48:51], 0 offset:692 ; 4-byte Folded Spill
	buffer_store_dword v121, off, s[48:51], 0 offset:696 ; 4-byte Folded Spill
	;; [unrolled: 1-line block ×4, first 2 shown]
	v_fma_f64 v[56:57], v[54:55], v[92:93], v[86:87]
	v_mul_f64 v[54:55], v[36:37], v[146:147]
	v_fma_f64 v[48:49], v[36:37], v[144:145], -v[52:53]
	buffer_store_dword v144, off, s[48:51], 0 offset:820 ; 4-byte Folded Spill
	buffer_store_dword v145, off, s[48:51], 0 offset:824 ; 4-byte Folded Spill
	;; [unrolled: 1-line block ×4, first 2 shown]
	v_add_f64 v[146:147], v[104:105], -v[116:117]
	s_waitcnt vmcnt(3) lgkmcnt(1)
	v_mul_f64 v[60:61], v[40:41], v[161:162]
	s_waitcnt vmcnt(2) lgkmcnt(0)
	v_mul_f64 v[52:53], v[44:45], v[157:158]
	v_add_f64 v[126:127], v[106:107], v[110:111]
	v_add_f64 v[134:135], v[102:103], -v[114:115]
	v_fma_f64 v[92:93], v[62:63], v[124:125], v[74:75]
	v_fma_f64 v[88:89], v[66:67], v[96:97], v[78:79]
	;; [unrolled: 1-line block ×3, first 2 shown]
	v_mul_f64 v[50:51], v[42:43], v[161:162]
	v_fma_f64 v[36:37], v[38:39], v[144:145], v[54:55]
	v_mul_f64 v[38:39], v[46:47], v[157:158]
	v_add_f64 v[144:145], v[106:107], -v[110:111]
	v_fma_f64 v[82:83], v[40:41], v[159:160], -v[50:51]
	buffer_store_dword v159, off, s[48:51], 0 offset:868 ; 4-byte Folded Spill
	buffer_store_dword v160, off, s[48:51], 0 offset:872 ; 4-byte Folded Spill
	;; [unrolled: 1-line block ×4, first 2 shown]
	v_fma_f64 v[50:51], v[44:45], v[155:156], -v[38:39]
	v_fma_f64 v[80:81], v[42:43], v[159:160], v[60:61]
	ds_read_b128 v[40:43], v143 offset:13728
	buffer_store_dword v155, off, s[48:51], 0 offset:852 ; 4-byte Folded Spill
	buffer_store_dword v156, off, s[48:51], 0 offset:856 ; 4-byte Folded Spill
	buffer_store_dword v157, off, s[48:51], 0 offset:860 ; 4-byte Folded Spill
	buffer_store_dword v158, off, s[48:51], 0 offset:864 ; 4-byte Folded Spill
	s_waitcnt vmcnt(1) lgkmcnt(0)
	v_mul_f64 v[44:45], v[42:43], v[150:151]
	v_fma_f64 v[86:87], v[40:41], v[148:149], -v[44:45]
	v_fma_f64 v[38:39], v[46:47], v[155:156], v[52:53]
	v_mul_f64 v[46:47], v[40:41], v[150:151]
	buffer_store_dword v148, off, s[48:51], 0 offset:836 ; 4-byte Folded Spill
	buffer_store_dword v149, off, s[48:51], 0 offset:840 ; 4-byte Folded Spill
	;; [unrolled: 1-line block ×4, first 2 shown]
	v_add_co_u32 v52, s1, 0xb60, v118
	v_add_co_ci_u32_e64 v53, s1, 0, v119, s1
	v_fma_f64 v[84:85], v[42:43], v[148:149], v[46:47]
	ds_read_b128 v[44:47], v143 offset:4992
	v_add_f64 v[148:149], v[108:109], -v[112:113]
	s_waitcnt vmcnt(0) lgkmcnt(0)
	v_mul_f64 v[40:41], v[46:47], v[141:142]
	v_fma_f64 v[42:43], v[44:45], v[139:140], -v[40:41]
	v_mul_f64 v[40:41], v[44:45], v[141:142]
	buffer_store_dword v139, off, s[48:51], 0 offset:804 ; 4-byte Folded Spill
	buffer_store_dword v140, off, s[48:51], 0 offset:808 ; 4-byte Folded Spill
	;; [unrolled: 1-line block ×4, first 2 shown]
	s_clause 0x2
	global_load_dwordx4 v[220:223], v[52:53], off offset:16
	global_load_dwordx4 v[224:227], v[52:53], off offset:32
	;; [unrolled: 1-line block ×3, first 2 shown]
	ds_read_b128 v[72:75], v143 offset:11856
	ds_read_b128 v[118:121], v143 offset:14976
	v_fma_f64 v[40:41], v[46:47], v[139:140], v[40:41]
	ds_read_b128 v[44:47], v143 offset:8112
	s_waitcnt vmcnt(2) lgkmcnt(0)
	v_mul_f64 v[54:55], v[46:47], v[222:223]
	v_fma_f64 v[60:61], v[44:45], v[220:221], -v[54:55]
	v_mul_f64 v[44:45], v[44:45], v[222:223]
	v_fma_f64 v[62:63], v[46:47], v[220:221], v[44:45]
	ds_read_b128 v[44:47], v143 offset:11232
	s_waitcnt vmcnt(1) lgkmcnt(0)
	v_mul_f64 v[54:55], v[46:47], v[226:227]
	v_fma_f64 v[68:69], v[44:45], v[224:225], -v[54:55]
	v_mul_f64 v[44:45], v[44:45], v[226:227]
	;; [unrolled: 6-line block ×3, first 2 shown]
	ds_read_b128 v[52:55], v143 offset:5616
	v_fma_f64 v[78:79], v[46:47], v[208:209], v[44:45]
	v_lshlrev_b64 v[44:45], 6, v[100:101]
	v_add_co_u32 v64, s1, s2, v44
	v_add_co_ci_u32_e64 v65, s1, s3, v45, s1
	s_mov_b32 s2, 0x4755a5e
	v_add_co_u32 v44, s1, 0x800, v64
	v_add_co_ci_u32_e64 v45, s1, 0, v65, s1
	v_add_co_u32 v100, s1, 0xb60, v64
	v_add_co_ci_u32_e64 v101, s1, 0, v65, s1
	ds_read_b128 v[64:67], v143 offset:8736
	global_load_dwordx4 v[216:219], v[44:45], off offset:864
	s_mov_b32 s3, 0x3fe2cf23
	s_clause 0x2
	global_load_dwordx4 v[204:207], v[100:101], off offset:16
	global_load_dwordx4 v[212:215], v[100:101], off offset:32
	global_load_dwordx4 v[122:125], v[100:101], off offset:48
	v_add_f64 v[100:101], v[104:105], -v[108:109]
	s_mov_b32 s14, s2
	s_waitcnt vmcnt(3) lgkmcnt(1)
	v_mul_f64 v[44:45], v[54:55], v[218:219]
	v_fma_f64 v[46:47], v[52:53], v[216:217], -v[44:45]
	v_mul_f64 v[44:45], v[52:53], v[218:219]
	s_waitcnt vmcnt(2) lgkmcnt(0)
	v_mul_f64 v[52:53], v[66:67], v[206:207]
	v_fma_f64 v[44:45], v[54:55], v[216:217], v[44:45]
	v_mul_f64 v[54:55], v[64:65], v[206:207]
	v_fma_f64 v[52:53], v[64:65], v[204:205], -v[52:53]
	s_waitcnt vmcnt(1)
	v_mul_f64 v[64:65], v[74:75], v[214:215]
	v_fma_f64 v[54:55], v[66:67], v[204:205], v[54:55]
	v_mul_f64 v[66:67], v[72:73], v[214:215]
	v_fma_f64 v[64:65], v[72:73], v[212:213], -v[64:65]
	v_fma_f64 v[72:73], v[74:75], v[212:213], v[66:67]
	s_waitcnt vmcnt(0)
	v_mul_f64 v[66:67], v[120:121], v[124:125]
	v_mul_f64 v[74:75], v[118:119], v[124:125]
	v_add_f64 v[155:156], v[52:53], -v[64:65]
	v_fma_f64 v[66:67], v[118:119], v[122:123], -v[66:67]
	buffer_store_dword v122, off, s[48:51], 0 offset:884 ; 4-byte Folded Spill
	buffer_store_dword v123, off, s[48:51], 0 offset:888 ; 4-byte Folded Spill
	;; [unrolled: 1-line block ×4, first 2 shown]
	v_add_f64 v[118:119], v[116:117], -v[112:113]
	v_add_f64 v[124:125], v[108:109], v[112:113]
	v_add_f64 v[100:101], v[100:101], v[118:119]
	v_add_f64 v[118:119], v[102:103], -v[106:107]
	v_fma_f64 v[74:75], v[120:121], v[122:123], v[74:75]
	v_add_f64 v[120:121], v[114:115], -v[110:111]
	v_add_f64 v[122:123], v[118:119], v[120:121]
	ds_read_b128 v[118:121], v143
	s_waitcnt lgkmcnt(0)
	v_fma_f64 v[124:125], v[124:125], -0.5, v[118:119]
	v_fma_f64 v[126:127], v[126:127], -0.5, v[120:121]
	v_fma_f64 v[128:129], v[134:135], s[4:5], v[124:125]
	v_fma_f64 v[124:125], v[134:135], s[12:13], v[124:125]
	;; [unrolled: 1-line block ×10, first 2 shown]
	v_add_f64 v[100:101], v[104:105], v[116:117]
	v_fma_f64 v[130:131], v[122:123], s[16:17], v[130:131]
	v_fma_f64 v[141:142], v[122:123], s[16:17], v[126:127]
	v_fma_f64 v[122:123], v[100:101], -0.5, v[118:119]
	v_add_f64 v[100:101], v[102:103], v[114:115]
	v_fma_f64 v[124:125], v[100:101], -0.5, v[120:121]
	v_add_f64 v[100:101], v[118:119], v[104:105]
	v_add_f64 v[118:119], v[120:121], v[102:103]
	v_add_f64 v[104:105], v[108:109], -v[104:105]
	v_add_f64 v[100:101], v[100:101], v[108:109]
	v_add_f64 v[108:109], v[118:119], v[106:107]
	v_add_f64 v[106:107], v[106:107], -v[102:103]
	v_fma_f64 v[118:119], v[148:149], s[12:13], v[124:125]
	v_add_f64 v[100:101], v[100:101], v[112:113]
	v_add_f64 v[102:103], v[108:109], v[110:111]
	v_add_f64 v[108:109], v[112:113], -v[116:117]
	v_add_f64 v[110:111], v[110:111], -v[114:115]
	v_fma_f64 v[112:113], v[144:145], s[12:13], v[122:123]
	v_add_f64 v[100:101], v[100:101], v[116:117]
	v_add_f64 v[102:103], v[102:103], v[114:115]
	v_fma_f64 v[114:115], v[144:145], s[4:5], v[122:123]
	v_fma_f64 v[116:117], v[148:149], s[4:5], v[124:125]
	v_add_f64 v[108:109], v[104:105], v[108:109]
	v_add_f64 v[110:111], v[106:107], v[110:111]
	v_fma_f64 v[104:105], v[134:135], s[2:3], v[112:113]
	v_add_f64 v[144:145], v[92:93], -v[88:89]
	v_fma_f64 v[112:113], v[134:135], s[14:15], v[114:115]
	v_fma_f64 v[106:107], v[146:147], s[14:15], v[116:117]
	v_fma_f64 v[114:115], v[146:147], s[2:3], v[118:119]
	v_add_f64 v[116:117], v[94:95], v[90:91]
	v_fma_f64 v[104:105], v[108:109], s[16:17], v[104:105]
	v_add_f64 v[134:135], v[56:57], -v[96:97]
	v_add_f64 v[146:147], v[58:59], -v[98:99]
	v_fma_f64 v[108:109], v[108:109], s[16:17], v[112:113]
	v_fma_f64 v[106:107], v[110:111], s[16:17], v[106:107]
	;; [unrolled: 1-line block ×3, first 2 shown]
	v_add_f64 v[112:113], v[58:59], -v[94:95]
	v_add_f64 v[114:115], v[98:99], -v[90:91]
	v_add_f64 v[120:121], v[112:113], v[114:115]
	v_add_f64 v[112:113], v[56:57], -v[92:93]
	v_add_f64 v[114:115], v[96:97], -v[88:89]
	v_add_f64 v[122:123], v[112:113], v[114:115]
	ds_read_b128 v[112:115], v143 offset:624
	s_waitcnt lgkmcnt(0)
	v_fma_f64 v[124:125], v[116:117], -0.5, v[112:113]
	v_add_f64 v[116:117], v[92:93], v[88:89]
	v_fma_f64 v[126:127], v[116:117], -0.5, v[114:115]
	v_fma_f64 v[116:117], v[134:135], s[4:5], v[124:125]
	v_fma_f64 v[124:125], v[134:135], s[12:13], v[124:125]
	;; [unrolled: 1-line block ×10, first 2 shown]
	v_add_f64 v[120:121], v[58:59], v[98:99]
	v_add_f64 v[124:125], v[94:95], -v[58:59]
	v_fma_f64 v[118:119], v[122:123], s[16:17], v[118:119]
	v_fma_f64 v[150:151], v[122:123], s[16:17], v[126:127]
	v_add_f64 v[122:123], v[56:57], v[96:97]
	v_add_f64 v[126:127], v[82:83], -v[50:51]
	v_fma_f64 v[120:121], v[120:121], -0.5, v[112:113]
	v_add_f64 v[112:113], v[112:113], v[58:59]
	v_fma_f64 v[122:123], v[122:123], -0.5, v[114:115]
	v_add_f64 v[114:115], v[114:115], v[56:57]
	v_add_f64 v[58:59], v[112:113], v[94:95]
	v_fma_f64 v[112:113], v[152:153], s[12:13], v[122:123]
	v_add_f64 v[94:95], v[114:115], v[92:93]
	v_add_f64 v[92:93], v[92:93], -v[56:57]
	v_add_f64 v[56:57], v[58:59], v[90:91]
	v_add_f64 v[90:91], v[90:91], -v[98:99]
	;; [unrolled: 2-line block ×3, first 2 shown]
	v_add_f64 v[56:57], v[56:57], v[98:99]
	v_fma_f64 v[94:95], v[144:145], s[12:13], v[120:121]
	v_fma_f64 v[98:99], v[152:153], s[4:5], v[122:123]
	v_add_f64 v[114:115], v[124:125], v[90:91]
	v_add_f64 v[124:125], v[48:49], -v[86:87]
	v_add_f64 v[122:123], v[80:81], -v[38:39]
	;; [unrolled: 1-line block ×3, first 2 shown]
	v_add_f64 v[58:59], v[58:59], v[96:97]
	v_fma_f64 v[96:97], v[144:145], s[4:5], v[120:121]
	ds_write_b128 v143, v[100:103]
	ds_write_b128 v143, v[56:59] offset:624
	v_add_f64 v[56:57], v[48:49], -v[82:83]
	v_add_f64 v[58:59], v[86:87], -v[50:51]
	v_add_f64 v[120:121], v[92:93], v[88:89]
	v_fma_f64 v[92:93], v[134:135], s[14:15], v[96:97]
	v_add_f64 v[96:97], v[84:85], -v[38:39]
	v_add_f64 v[100:101], v[82:83], v[50:51]
	v_fma_f64 v[90:91], v[146:147], s[14:15], v[98:99]
	v_fma_f64 v[88:89], v[134:135], s[2:3], v[94:95]
	;; [unrolled: 1-line block ×3, first 2 shown]
	v_add_f64 v[134:135], v[42:43], -v[70:71]
	v_add_f64 v[144:145], v[60:61], -v[68:69]
	v_add_f64 v[56:57], v[56:57], v[58:59]
	v_add_f64 v[58:59], v[36:37], -v[80:81]
	v_fma_f64 v[92:93], v[114:115], s[16:17], v[92:93]
	v_fma_f64 v[90:91], v[120:121], s[16:17], v[90:91]
	;; [unrolled: 1-line block ×4, first 2 shown]
	v_add_f64 v[120:121], v[36:37], -v[84:85]
	v_add_f64 v[58:59], v[58:59], v[96:97]
	ds_read_b128 v[96:99], v143 offset:1248
	s_waitcnt lgkmcnt(0)
	v_fma_f64 v[112:113], v[100:101], -0.5, v[96:97]
	v_add_f64 v[100:101], v[80:81], v[38:39]
	v_fma_f64 v[114:115], v[100:101], -0.5, v[98:99]
	v_fma_f64 v[100:101], v[120:121], s[4:5], v[112:113]
	v_fma_f64 v[112:113], v[120:121], s[12:13], v[112:113]
	;; [unrolled: 1-line block ×10, first 2 shown]
	v_add_f64 v[112:113], v[48:49], v[86:87]
	v_fma_f64 v[102:103], v[58:59], s[16:17], v[102:103]
	v_fma_f64 v[58:59], v[58:59], s[16:17], v[114:115]
	v_add_f64 v[114:115], v[36:37], v[84:85]
	v_fma_f64 v[112:113], v[112:113], -0.5, v[96:97]
	v_add_f64 v[96:97], v[96:97], v[48:49]
	v_add_f64 v[48:49], v[82:83], -v[48:49]
	v_fma_f64 v[114:115], v[114:115], -0.5, v[98:99]
	v_add_f64 v[98:99], v[98:99], v[36:37]
	v_add_f64 v[36:37], v[80:81], -v[36:37]
	v_add_f64 v[82:83], v[96:97], v[82:83]
	v_add_f64 v[96:97], v[98:99], v[80:81]
	v_fma_f64 v[98:99], v[126:127], s[12:13], v[114:115]
	v_add_f64 v[80:81], v[82:83], v[50:51]
	v_add_f64 v[50:51], v[50:51], -v[86:87]
	v_add_f64 v[82:83], v[96:97], v[38:39]
	v_add_f64 v[38:39], v[38:39], -v[84:85]
	v_add_f64 v[80:81], v[80:81], v[86:87]
	v_fma_f64 v[86:87], v[122:123], s[4:5], v[112:113]
	v_fma_f64 v[96:97], v[126:127], s[4:5], v[114:115]
	v_add_f64 v[48:49], v[48:49], v[50:51]
	v_add_f64 v[114:115], v[62:63], v[76:77]
	v_add_f64 v[126:127], v[62:63], -v[76:77]
	v_add_f64 v[82:83], v[82:83], v[84:85]
	v_fma_f64 v[84:85], v[122:123], s[12:13], v[112:113]
	v_add_f64 v[38:39], v[36:37], v[38:39]
	v_fma_f64 v[50:51], v[120:121], s[14:15], v[86:87]
	v_fma_f64 v[86:87], v[124:125], s[14:15], v[96:97]
	;; [unrolled: 1-line block ×3, first 2 shown]
	v_add_f64 v[112:113], v[60:61], v[68:69]
	v_add_f64 v[124:125], v[40:41], -v[78:79]
	v_fma_f64 v[36:37], v[120:121], s[2:3], v[84:85]
	v_fma_f64 v[86:87], v[38:39], s[16:17], v[86:87]
	;; [unrolled: 1-line block ×3, first 2 shown]
	v_add_f64 v[96:97], v[78:79], -v[76:77]
	v_fma_f64 v[84:85], v[48:49], s[16:17], v[36:37]
	v_fma_f64 v[36:37], v[48:49], s[16:17], v[50:51]
	v_add_f64 v[48:49], v[42:43], -v[60:61]
	v_add_f64 v[50:51], v[70:71], -v[68:69]
	v_add_f64 v[48:49], v[48:49], v[50:51]
	v_add_f64 v[50:51], v[40:41], -v[62:63]
	v_add_f64 v[50:51], v[50:51], v[96:97]
	ds_read_b128 v[96:99], v143 offset:1872
	s_waitcnt lgkmcnt(0)
	v_fma_f64 v[112:113], v[112:113], -0.5, v[96:97]
	v_fma_f64 v[114:115], v[114:115], -0.5, v[98:99]
	v_fma_f64 v[120:121], v[124:125], s[4:5], v[112:113]
	v_fma_f64 v[122:123], v[134:135], s[12:13], v[114:115]
	;; [unrolled: 1-line block ×12, first 2 shown]
	v_add_f64 v[112:113], v[42:43], v[70:71]
	v_add_f64 v[114:115], v[40:41], v[78:79]
	v_fma_f64 v[112:113], v[112:113], -0.5, v[96:97]
	v_fma_f64 v[114:115], v[114:115], -0.5, v[98:99]
	v_add_f64 v[96:97], v[96:97], v[42:43]
	v_add_f64 v[98:99], v[98:99], v[40:41]
	v_add_f64 v[42:43], v[60:61], -v[42:43]
	v_add_f64 v[40:41], v[62:63], -v[40:41]
	v_add_f64 v[60:61], v[96:97], v[60:61]
	v_add_f64 v[96:97], v[98:99], v[62:63]
	v_fma_f64 v[98:99], v[144:145], s[12:13], v[114:115]
	v_add_f64 v[60:61], v[60:61], v[68:69]
	v_add_f64 v[62:63], v[96:97], v[76:77]
	v_add_f64 v[96:97], v[68:69], -v[70:71]
	v_add_f64 v[68:69], v[60:61], v[70:71]
	v_add_f64 v[70:71], v[62:63], v[78:79]
	v_add_f64 v[60:61], v[76:77], -v[78:79]
	v_fma_f64 v[62:63], v[126:127], s[12:13], v[112:113]
	v_fma_f64 v[76:77], v[126:127], s[4:5], v[112:113]
	;; [unrolled: 1-line block ×3, first 2 shown]
	v_add_f64 v[42:43], v[42:43], v[96:97]
	v_add_f64 v[96:97], v[52:53], v[64:65]
	v_add_f64 v[112:113], v[44:45], -v[74:75]
	v_add_f64 v[114:115], v[54:55], -v[72:73]
	v_add_f64 v[40:41], v[40:41], v[60:61]
	v_fma_f64 v[60:61], v[124:125], s[2:3], v[62:63]
	v_fma_f64 v[76:77], v[124:125], s[14:15], v[76:77]
	;; [unrolled: 1-line block ×4, first 2 shown]
	v_add_f64 v[98:99], v[54:55], v[72:73]
	v_fma_f64 v[60:61], v[42:43], s[16:17], v[60:61]
	v_fma_f64 v[124:125], v[42:43], s[16:17], v[76:77]
	;; [unrolled: 1-line block ×4, first 2 shown]
	v_add_f64 v[40:41], v[46:47], -v[52:53]
	v_add_f64 v[42:43], v[66:67], -v[64:65]
	;; [unrolled: 1-line block ×3, first 2 shown]
	v_add_f64 v[40:41], v[40:41], v[42:43]
	v_add_f64 v[42:43], v[44:45], -v[54:55]
	v_add_f64 v[42:43], v[42:43], v[76:77]
	ds_read_b128 v[76:79], v143 offset:2496
	ds_write_b128 v143, v[128:131] offset:3120
	ds_write_b128 v143, v[104:107] offset:6240
	;; [unrolled: 1-line block ×9, first 2 shown]
	s_waitcnt lgkmcnt(9)
	v_fma_f64 v[96:97], v[96:97], -0.5, v[76:77]
	v_fma_f64 v[98:99], v[98:99], -0.5, v[78:79]
	v_fma_f64 v[134:135], v[112:113], s[4:5], v[96:97]
	v_fma_f64 v[144:145], v[152:153], s[12:13], v[98:99]
	;; [unrolled: 1-line block ×12, first 2 shown]
	v_add_f64 v[96:97], v[46:47], v[66:67]
	v_add_f64 v[98:99], v[44:45], v[74:75]
	v_fma_f64 v[96:97], v[96:97], -0.5, v[76:77]
	v_fma_f64 v[98:99], v[98:99], -0.5, v[78:79]
	v_add_f64 v[76:77], v[76:77], v[46:47]
	v_add_f64 v[78:79], v[78:79], v[44:45]
	v_add_f64 v[46:47], v[52:53], -v[46:47]
	v_add_f64 v[44:45], v[54:55], -v[44:45]
	v_add_f64 v[52:53], v[76:77], v[52:53]
	v_add_f64 v[76:77], v[78:79], v[54:55]
	v_fma_f64 v[78:79], v[155:156], s[12:13], v[98:99]
	v_add_f64 v[52:53], v[52:53], v[64:65]
	v_add_f64 v[54:55], v[76:77], v[72:73]
	v_add_f64 v[76:77], v[64:65], -v[66:67]
	v_add_f64 v[64:65], v[52:53], v[66:67]
	v_add_f64 v[66:67], v[54:55], v[74:75]
	v_add_f64 v[52:53], v[72:73], -v[74:75]
	v_fma_f64 v[54:55], v[114:115], s[12:13], v[96:97]
	v_fma_f64 v[74:75], v[155:156], s[4:5], v[98:99]
	;; [unrolled: 1-line block ×3, first 2 shown]
	v_add_f64 v[46:47], v[46:47], v[76:77]
	v_lshl_add_u32 v155, v133, 4, v132
	v_add_f64 v[76:77], v[44:45], v[52:53]
	v_fma_f64 v[44:45], v[112:113], s[2:3], v[54:55]
	v_fma_f64 v[54:55], v[152:153], s[14:15], v[74:75]
	;; [unrolled: 1-line block ×8, first 2 shown]
	ds_write_b128 v155, v[100:103] offset:4368
	ds_write_b128 v155, v[84:87] offset:7488
	;; [unrolled: 1-line block ×14, first 2 shown]
	s_waitcnt lgkmcnt(0)
	s_waitcnt_vscnt null, 0x0
	s_barrier
	buffer_gl0_inv
	s_clause 0x1
	buffer_load_dword v72, off, s[48:51], 0
	buffer_load_dword v73, off, s[48:51], 0 offset:4
	ds_read_b128 v[76:79], v143
	ds_read_b128 v[94:97], v143 offset:3600
	ds_read_b128 v[112:115], v143 offset:7200
	ds_read_b128 v[128:131], v143 offset:8400
	ds_read_b128 v[132:135], v143 offset:9600
	ds_read_b128 v[148:151], v143 offset:10800
	ds_read_b128 v[156:159], v143 offset:12000
	ds_read_b128 v[160:163], v143 offset:13200
	ds_read_b128 v[164:167], v143 offset:14400
	ds_read_b128 v[100:103], v143 offset:4800
	ds_read_b128 v[106:109], v143 offset:6000
	s_waitcnt vmcnt(0)
	global_load_dwordx4 v[72:75], v[72:73], off offset:1264
	s_waitcnt vmcnt(0) lgkmcnt(10)
	v_mul_f64 v[80:81], v[78:79], v[74:75]
	v_mul_f64 v[82:83], v[76:77], v[74:75]
	v_fma_f64 v[74:75], v[76:77], v[72:73], -v[80:81]
	v_fma_f64 v[76:77], v[78:79], v[72:73], v[82:83]
	v_add_co_u32 v72, s1, 0x3cf0, v136
	v_add_co_ci_u32_e64 v73, s1, 0, v137, s1
	ds_read_b128 v[82:85], v143 offset:1200
	global_load_dwordx4 v[78:81], v[72:73], off offset:1200
	s_waitcnt vmcnt(0) lgkmcnt(0)
	v_mul_f64 v[86:87], v[84:85], v[80:81]
	v_mul_f64 v[88:89], v[82:83], v[80:81]
	v_fma_f64 v[80:81], v[82:83], v[78:79], -v[86:87]
	v_fma_f64 v[82:83], v[84:85], v[78:79], v[88:89]
	v_add_co_u32 v78, s1, 0x4000, v136
	v_add_co_ci_u32_e64 v79, s1, 0, v137, s1
	ds_read_b128 v[88:91], v143 offset:2400
	global_load_dwordx4 v[84:87], v[78:79], off offset:1616
	s_waitcnt vmcnt(0) lgkmcnt(0)
	v_mul_f64 v[78:79], v[90:91], v[86:87]
	v_mul_f64 v[92:93], v[88:89], v[86:87]
	v_fma_f64 v[86:87], v[88:89], v[84:85], -v[78:79]
	v_add_co_u32 v78, s1, 0x4800, v136
	v_add_co_ci_u32_e64 v79, s1, 0, v137, s1
	v_fma_f64 v[88:89], v[90:91], v[84:85], v[92:93]
	global_load_dwordx4 v[90:93], v[78:79], off offset:768
	s_waitcnt vmcnt(0)
	v_mul_f64 v[84:85], v[96:97], v[92:93]
	v_mul_f64 v[98:99], v[94:95], v[92:93]
	v_fma_f64 v[92:93], v[94:95], v[90:91], -v[84:85]
	v_fma_f64 v[94:95], v[96:97], v[90:91], v[98:99]
	global_load_dwordx4 v[96:99], v[78:79], off offset:1968
	s_waitcnt vmcnt(0)
	v_mul_f64 v[78:79], v[102:103], v[98:99]
	v_mul_f64 v[84:85], v[100:101], v[98:99]
	v_fma_f64 v[98:99], v[100:101], v[96:97], -v[78:79]
	v_add_co_u32 v78, s1, 0x5000, v136
	v_add_co_ci_u32_e64 v79, s1, 0, v137, s1
	v_fma_f64 v[100:101], v[102:103], v[96:97], v[84:85]
	global_load_dwordx4 v[102:105], v[78:79], off offset:1120
	s_waitcnt vmcnt(0)
	v_mul_f64 v[78:79], v[108:109], v[104:105]
	v_mul_f64 v[84:85], v[106:107], v[104:105]
	v_fma_f64 v[104:105], v[106:107], v[102:103], -v[78:79]
	v_add_co_u32 v78, s1, 0x5800, v136
	v_add_co_ci_u32_e64 v79, s1, 0, v137, s1
	v_fma_f64 v[106:107], v[108:109], v[102:103], v[84:85]
	global_load_dwordx4 v[108:111], v[78:79], off offset:272
	s_waitcnt vmcnt(0)
	v_mul_f64 v[84:85], v[114:115], v[110:111]
	v_mul_f64 v[90:91], v[112:113], v[110:111]
	v_fma_f64 v[110:111], v[112:113], v[108:109], -v[84:85]
	v_fma_f64 v[112:113], v[114:115], v[108:109], v[90:91]
	global_load_dwordx4 v[114:117], v[78:79], off offset:1472
	s_waitcnt vmcnt(0)
	v_mul_f64 v[78:79], v[130:131], v[116:117]
	v_mul_f64 v[84:85], v[128:129], v[116:117]
	v_fma_f64 v[116:117], v[128:129], v[114:115], -v[78:79]
	v_add_co_u32 v78, s1, 0x6000, v136
	v_add_co_ci_u32_e64 v79, s1, 0, v137, s1
	v_fma_f64 v[118:119], v[130:131], v[114:115], v[84:85]
	s_clause 0x1
	global_load_dwordx4 v[128:131], v[78:79], off offset:624
	global_load_dwordx4 v[139:142], v[78:79], off offset:1824
	s_waitcnt vmcnt(1)
	v_mul_f64 v[84:85], v[134:135], v[130:131]
	s_waitcnt vmcnt(0)
	v_mul_f64 v[78:79], v[150:151], v[141:142]
	v_mul_f64 v[90:91], v[132:133], v[130:131]
	v_fma_f64 v[130:131], v[132:133], v[128:129], -v[84:85]
	v_mul_f64 v[84:85], v[148:149], v[141:142]
	v_fma_f64 v[148:149], v[148:149], v[139:140], -v[78:79]
	v_add_co_u32 v78, s1, 0x6800, v136
	v_add_co_ci_u32_e64 v79, s1, 0, v137, s1
	v_fma_f64 v[132:133], v[134:135], v[128:129], v[90:91]
	v_fma_f64 v[150:151], v[150:151], v[139:140], v[84:85]
	global_load_dwordx4 v[139:142], v[78:79], off offset:976
	s_waitcnt vmcnt(0)
	v_mul_f64 v[78:79], v[158:159], v[141:142]
	v_mul_f64 v[84:85], v[156:157], v[141:142]
	v_fma_f64 v[156:157], v[156:157], v[139:140], -v[78:79]
	v_add_co_u32 v78, s1, 0x7000, v136
	v_add_co_ci_u32_e64 v79, s1, 0, v137, s1
	v_fma_f64 v[158:159], v[158:159], v[139:140], v[84:85]
	global_load_dwordx4 v[139:142], v[78:79], off offset:128
	s_waitcnt vmcnt(0)
	v_mul_f64 v[84:85], v[162:163], v[141:142]
	v_mul_f64 v[90:91], v[160:161], v[141:142]
	v_fma_f64 v[160:161], v[160:161], v[139:140], -v[84:85]
	v_fma_f64 v[162:163], v[162:163], v[139:140], v[90:91]
	global_load_dwordx4 v[139:142], v[78:79], off offset:1328
	s_waitcnt vmcnt(0)
	v_mul_f64 v[78:79], v[166:167], v[141:142]
	v_mul_f64 v[84:85], v[164:165], v[141:142]
	v_fma_f64 v[164:165], v[164:165], v[139:140], -v[78:79]
	v_fma_f64 v[166:167], v[166:167], v[139:140], v[84:85]
	ds_write_b128 v143, v[74:77]
	ds_write_b128 v143, v[80:83] offset:1200
	ds_write_b128 v143, v[86:89] offset:2400
	;; [unrolled: 1-line block ×12, first 2 shown]
	s_and_saveexec_b32 s3, vcc_lo
	s_cbranch_execz .LBB0_13
; %bb.12:
	s_clause 0x1
	global_load_dwordx4 v[74:77], v[72:73], off offset:624
	global_load_dwordx4 v[78:81], v[72:73], off offset:1824
	v_add_co_u32 v82, s1, 0x800, v72
	v_add_co_ci_u32_e64 v83, s1, 0, v73, s1
	v_add_co_u32 v90, s1, 0x1000, v72
	v_add_co_ci_u32_e64 v91, s1, 0, v73, s1
	global_load_dwordx4 v[82:85], v[82:83], off offset:976
	v_add_co_u32 v98, s1, 0x1800, v72
	s_clause 0x1
	global_load_dwordx4 v[86:89], v[90:91], off offset:128
	global_load_dwordx4 v[90:93], v[90:91], off offset:1328
	v_add_co_u32 v106, s2, 0x2000, v72
	v_add_co_ci_u32_e64 v99, s1, 0, v73, s1
	v_add_co_ci_u32_e64 v107, s2, 0, v73, s2
	v_add_co_u32 v110, s1, 0x2800, v72
	global_load_dwordx4 v[94:97], v[98:99], off offset:480
	v_add_co_u32 v118, s2, 0x3000, v72
	v_add_co_ci_u32_e64 v111, s1, 0, v73, s1
	v_add_co_ci_u32_e64 v119, s1, 0, v73, s2
	s_clause 0x1
	global_load_dwordx4 v[98:101], v[98:99], off offset:1680
	global_load_dwordx4 v[102:105], v[106:107], off offset:832
	v_add_co_u32 v72, s1, 0x3800, v72
	global_load_dwordx4 v[106:109], v[106:107], off offset:2032
	v_add_co_ci_u32_e64 v73, s1, 0, v73, s1
	s_clause 0x3
	global_load_dwordx4 v[110:113], v[110:111], off offset:1184
	global_load_dwordx4 v[114:117], v[118:119], off offset:336
	global_load_dwordx4 v[128:131], v[118:119], off offset:1536
	global_load_dwordx4 v[132:135], v[72:73], off offset:688
	ds_read_b128 v[139:142], v143 offset:624
	ds_read_b128 v[148:151], v143 offset:1824
	;; [unrolled: 1-line block ×11, first 2 shown]
	s_waitcnt vmcnt(12) lgkmcnt(10)
	v_mul_f64 v[72:73], v[141:142], v[76:77]
	v_mul_f64 v[76:77], v[139:140], v[76:77]
	s_waitcnt vmcnt(11) lgkmcnt(9)
	v_mul_f64 v[118:119], v[150:151], v[80:81]
	v_mul_f64 v[80:81], v[148:149], v[80:81]
	;; [unrolled: 3-line block ×5, first 2 shown]
	v_fma_f64 v[72:73], v[139:140], v[74:75], -v[72:73]
	v_fma_f64 v[74:75], v[141:142], v[74:75], v[76:77]
	ds_read_b128 v[139:142], v143 offset:13824
	v_fma_f64 v[76:77], v[148:149], v[78:79], -v[118:119]
	v_fma_f64 v[78:79], v[150:151], v[78:79], v[80:81]
	ds_read_b128 v[148:151], v143 offset:15024
	s_waitcnt vmcnt(7) lgkmcnt(7)
	v_mul_f64 v[118:119], v[170:171], v[96:97]
	v_mul_f64 v[96:97], v[168:169], v[96:97]
	s_waitcnt vmcnt(6) lgkmcnt(6)
	v_mul_f64 v[196:197], v[174:175], v[100:101]
	v_mul_f64 v[100:101], v[172:173], v[100:101]
	v_fma_f64 v[80:81], v[156:157], v[82:83], -v[152:153]
	s_waitcnt vmcnt(5) lgkmcnt(5)
	v_mul_f64 v[152:153], v[178:179], v[104:105]
	v_mul_f64 v[104:105], v[176:177], v[104:105]
	s_waitcnt vmcnt(4) lgkmcnt(4)
	v_mul_f64 v[156:157], v[182:183], v[108:109]
	v_mul_f64 v[108:109], v[180:181], v[108:109]
	v_fma_f64 v[82:83], v[158:159], v[82:83], v[84:85]
	s_waitcnt vmcnt(3) lgkmcnt(3)
	v_mul_f64 v[158:159], v[186:187], v[112:113]
	v_mul_f64 v[112:113], v[184:185], v[112:113]
	v_fma_f64 v[84:85], v[160:161], v[86:87], -v[192:193]
	s_waitcnt vmcnt(2) lgkmcnt(2)
	v_mul_f64 v[160:161], v[190:191], v[116:117]
	v_mul_f64 v[116:117], v[188:189], v[116:117]
	v_fma_f64 v[86:87], v[162:163], v[86:87], v[88:89]
	s_waitcnt vmcnt(1) lgkmcnt(1)
	v_mul_f64 v[162:163], v[141:142], v[130:131]
	v_mul_f64 v[130:131], v[139:140], v[130:131]
	v_fma_f64 v[88:89], v[164:165], v[90:91], -v[194:195]
	s_waitcnt vmcnt(0) lgkmcnt(0)
	v_mul_f64 v[164:165], v[150:151], v[134:135]
	v_mul_f64 v[134:135], v[148:149], v[134:135]
	v_fma_f64 v[90:91], v[166:167], v[90:91], v[92:93]
	v_fma_f64 v[92:93], v[168:169], v[94:95], -v[118:119]
	v_fma_f64 v[94:95], v[170:171], v[94:95], v[96:97]
	v_fma_f64 v[96:97], v[172:173], v[98:99], -v[196:197]
	;; [unrolled: 2-line block ×8, first 2 shown]
	v_fma_f64 v[130:131], v[150:151], v[132:133], v[134:135]
	ds_write_b128 v143, v[72:75] offset:624
	ds_write_b128 v143, v[76:79] offset:1824
	;; [unrolled: 1-line block ×13, first 2 shown]
.LBB0_13:
	s_or_b32 exec_lo, exec_lo, s3
	s_waitcnt lgkmcnt(0)
	s_barrier
	buffer_gl0_inv
	ds_read_b128 v[72:75], v143
	ds_read_b128 v[76:79], v143 offset:1200
	ds_read_b128 v[100:103], v143 offset:2400
	;; [unrolled: 1-line block ×12, first 2 shown]
	s_and_saveexec_b32 s1, vcc_lo
	s_cbranch_execz .LBB0_15
; %bb.14:
	buffer_load_dword v32, off, s[48:51], 0 offset:8 ; 4-byte Folded Reload
	s_waitcnt vmcnt(0)
	v_lshl_add_u32 v32, v138, 4, v32
	ds_read_b128 v[36:39], v143 offset:624
	ds_read_b128 v[56:59], v32 offset:1824
	;; [unrolled: 1-line block ×13, first 2 shown]
.LBB0_15:
	s_or_b32 exec_lo, exec_lo, s1
	s_waitcnt lgkmcnt(11)
	v_add_f64 v[132:133], v[72:73], v[76:77]
	v_add_f64 v[134:135], v[74:75], v[78:79]
	s_waitcnt lgkmcnt(1)
	v_add_f64 v[148:149], v[100:101], v[108:109]
	v_add_f64 v[150:151], v[102:103], v[110:111]
	v_add_f64 v[141:142], v[100:101], -v[108:109]
	v_add_f64 v[152:153], v[102:103], -v[110:111]
	s_mov_b32 s44, 0x4267c47c
	s_mov_b32 s20, 0x42a4c3d2
	;; [unrolled: 1-line block ×12, first 2 shown]
	v_add_f64 v[160:161], v[92:93], -v[96:97]
	v_add_f64 v[162:163], v[94:95], -v[98:99]
	v_add_f64 v[164:165], v[84:85], v[88:89]
	v_add_f64 v[166:167], v[86:87], v[90:91]
	v_add_f64 v[132:133], v[132:133], v[100:101]
	v_add_f64 v[134:135], v[134:135], v[102:103]
	v_add_f64 v[168:169], v[84:85], -v[88:89]
	v_add_f64 v[170:171], v[86:87], -v[90:91]
	s_mov_b32 s2, 0xe00740e9
	s_mov_b32 s12, 0x1ea71119
	;; [unrolled: 1-line block ×12, first 2 shown]
	v_add_f64 v[139:140], v[118:119], v[130:131]
	s_mov_b32 s25, 0x3fddbe06
	s_mov_b32 s29, 0x3fea55e2
	;; [unrolled: 1-line block ×5, first 2 shown]
	v_add_f64 v[132:133], v[132:133], v[116:117]
	v_add_f64 v[134:135], v[134:135], v[118:119]
	v_add_f64 v[118:119], v[118:119], -v[130:131]
	s_mov_b32 s36, s34
	s_mov_b32 s43, 0x3fedeba7
	;; [unrolled: 1-line block ×7, first 2 shown]
	v_mul_f64 v[200:201], v[170:171], s[26:27]
	s_waitcnt lgkmcnt(0)
	s_barrier
	buffer_gl0_inv
	v_add_f64 v[132:133], v[132:133], v[104:105]
	v_add_f64 v[134:135], v[134:135], v[106:107]
	;; [unrolled: 1-line block ×10, first 2 shown]
	v_add_f64 v[88:89], v[76:77], -v[80:81]
	v_mul_f64 v[172:173], v[86:87], s[16:17]
	v_mul_f64 v[174:175], v[86:87], s[4:5]
	v_add_f64 v[132:133], v[132:133], v[96:97]
	v_add_f64 v[134:135], v[134:135], v[98:99]
	v_fma_f64 v[182:183], v[88:89], s[42:43], v[172:173]
	v_fma_f64 v[172:173], v[88:89], s[22:23], v[172:173]
	;; [unrolled: 1-line block ×4, first 2 shown]
	v_add_f64 v[132:133], v[132:133], v[112:113]
	v_add_f64 v[134:135], v[134:135], v[114:115]
	;; [unrolled: 1-line block ×8, first 2 shown]
	v_add_f64 v[132:133], v[78:79], -v[82:83]
	v_add_f64 v[134:135], v[116:117], v[128:129]
	v_add_f64 v[116:117], v[116:117], -v[128:129]
	v_add_f64 v[128:129], v[104:105], v[112:113]
	v_add_f64 v[130:131], v[106:107], v[114:115]
	v_add_f64 v[112:113], v[104:105], -v[112:113]
	v_add_f64 v[114:115], v[106:107], -v[114:115]
	v_add_f64 v[100:101], v[156:157], v[108:109]
	v_add_f64 v[102:103], v[158:159], v[110:111]
	;; [unrolled: 1-line block ×4, first 2 shown]
	v_mul_f64 v[90:91], v[132:133], s[44:45]
	v_mul_f64 v[92:93], v[132:133], s[22:23]
	;; [unrolled: 1-line block ×5, first 2 shown]
	v_add_f64 v[76:77], v[100:101], v[80:81]
	v_add_f64 v[78:79], v[102:103], v[82:83]
	v_mul_f64 v[80:81], v[132:133], s[20:21]
	v_mul_f64 v[82:83], v[132:133], s[34:35]
	v_fma_f64 v[98:99], v[84:85], s[2:3], v[90:91]
	v_fma_f64 v[90:91], v[84:85], s[2:3], -v[90:91]
	v_fma_f64 v[104:105], v[84:85], s[16:17], v[92:93]
	v_fma_f64 v[92:93], v[84:85], s[16:17], -v[92:93]
	;; [unrolled: 2-line block ×3, first 2 shown]
	v_fma_f64 v[108:109], v[84:85], s[30:31], v[96:97]
	v_mul_f64 v[132:133], v[86:87], s[14:15]
	v_fma_f64 v[178:179], v[88:89], s[28:29], v[110:111]
	v_fma_f64 v[110:111], v[88:89], s[20:21], v[110:111]
	ds_write_b128 v154, v[76:79]
	v_fma_f64 v[100:101], v[84:85], s[12:13], v[80:81]
	v_fma_f64 v[80:81], v[84:85], s[12:13], -v[80:81]
	v_fma_f64 v[102:103], v[84:85], s[14:15], v[82:83]
	v_fma_f64 v[82:83], v[84:85], s[14:15], -v[82:83]
	v_fma_f64 v[84:85], v[84:85], s[30:31], -v[96:97]
	v_mul_f64 v[96:97], v[86:87], s[2:3]
	v_mul_f64 v[86:87], v[86:87], s[30:31]
	v_add_f64 v[90:91], v[72:73], v[90:91]
	v_add_f64 v[104:105], v[72:73], v[104:105]
	v_fma_f64 v[180:181], v[88:89], s[36:37], v[132:133]
	v_fma_f64 v[132:133], v[88:89], s[34:35], v[132:133]
	v_add_f64 v[188:189], v[72:73], v[92:93]
	v_add_f64 v[190:191], v[72:73], v[106:107]
	;; [unrolled: 1-line block ×5, first 2 shown]
	v_mul_f64 v[92:93], v[139:140], s[14:15]
	v_mul_f64 v[94:95], v[114:115], s[22:23]
	;; [unrolled: 1-line block ×4, first 2 shown]
	v_add_f64 v[76:77], v[70:71], -v[42:43]
	v_add_f64 v[78:79], v[68:69], v[40:41]
	v_add_f64 v[100:101], v[72:73], v[100:101]
	;; [unrolled: 1-line block ×5, first 2 shown]
	v_fma_f64 v[176:177], v[88:89], s[24:25], v[96:97]
	v_fma_f64 v[96:97], v[88:89], s[44:45], v[96:97]
	;; [unrolled: 1-line block ×4, first 2 shown]
	v_add_f64 v[88:89], v[72:73], v[98:99]
	v_add_f64 v[132:133], v[74:75], v[132:133]
	;; [unrolled: 1-line block ×6, first 2 shown]
	v_mul_f64 v[72:73], v[152:153], s[20:21]
	v_add_f64 v[96:97], v[74:75], v[96:97]
	v_add_f64 v[186:187], v[74:75], v[186:187]
	;; [unrolled: 1-line block ×3, first 2 shown]
	v_mul_f64 v[82:83], v[150:151], s[12:13]
	v_fma_f64 v[74:75], v[148:149], s[12:13], v[72:73]
	v_fma_f64 v[72:73], v[148:149], s[12:13], -v[72:73]
	v_fma_f64 v[84:85], v[141:142], s[28:29], v[82:83]
	v_fma_f64 v[82:83], v[141:142], s[20:21], v[82:83]
	v_add_f64 v[74:75], v[74:75], v[88:89]
	v_mul_f64 v[88:89], v[118:119], s[34:35]
	v_add_f64 v[72:73], v[72:73], v[90:91]
	v_add_f64 v[84:85], v[84:85], v[98:99]
	v_mul_f64 v[98:99], v[130:131], s[16:17]
	v_add_f64 v[82:83], v[82:83], v[96:97]
	v_fma_f64 v[86:87], v[134:135], s[14:15], v[88:89]
	v_fma_f64 v[88:89], v[134:135], s[14:15], -v[88:89]
	v_add_f64 v[74:75], v[86:87], v[74:75]
	v_fma_f64 v[86:87], v[116:117], s[36:37], v[92:93]
	v_add_f64 v[72:73], v[88:89], v[72:73]
	v_fma_f64 v[88:89], v[116:117], s[34:35], v[92:93]
	v_mul_f64 v[92:93], v[150:151], s[16:17]
	v_add_f64 v[84:85], v[86:87], v[84:85]
	v_fma_f64 v[86:87], v[128:129], s[16:17], v[94:95]
	v_add_f64 v[82:83], v[88:89], v[82:83]
	v_fma_f64 v[88:89], v[128:129], s[16:17], -v[94:95]
	v_mul_f64 v[94:95], v[118:119], s[26:27]
	v_fma_f64 v[90:91], v[141:142], s[42:43], v[92:93]
	v_add_f64 v[74:75], v[86:87], v[74:75]
	v_fma_f64 v[86:87], v[112:113], s[42:43], v[98:99]
	v_add_f64 v[72:73], v[88:89], v[72:73]
	v_fma_f64 v[88:89], v[112:113], s[22:23], v[98:99]
	v_fma_f64 v[96:97], v[134:135], s[30:31], v[94:95]
	v_add_f64 v[90:91], v[90:91], v[176:177]
	v_add_f64 v[84:85], v[86:87], v[84:85]
	v_fma_f64 v[86:87], v[156:157], s[4:5], v[106:107]
	v_add_f64 v[82:83], v[88:89], v[82:83]
	v_fma_f64 v[88:89], v[156:157], s[4:5], -v[106:107]
	v_add_f64 v[74:75], v[86:87], v[74:75]
	v_fma_f64 v[86:87], v[160:161], s[38:39], v[108:109]
	v_add_f64 v[72:73], v[88:89], v[72:73]
	v_fma_f64 v[88:89], v[160:161], s[18:19], v[108:109]
	;; [unrolled: 2-line block ×3, first 2 shown]
	v_add_f64 v[82:83], v[88:89], v[82:83]
	v_fma_f64 v[88:89], v[164:165], s[30:31], -v[200:201]
	v_add_f64 v[84:85], v[84:85], v[74:75]
	v_mul_f64 v[74:75], v[166:167], s[30:31]
	v_add_f64 v[72:73], v[88:89], v[72:73]
	v_fma_f64 v[202:203], v[168:169], s[40:41], v[74:75]
	v_fma_f64 v[74:75], v[168:169], s[26:27], v[74:75]
	v_add_f64 v[86:87], v[202:203], v[86:87]
	v_add_f64 v[74:75], v[74:75], v[82:83]
	v_mul_f64 v[82:83], v[152:153], s[22:23]
	ds_write_b128 v154, v[84:87] offset:16
	v_add_f64 v[86:87], v[68:69], -v[40:41]
	v_fma_f64 v[88:89], v[148:149], s[16:17], v[82:83]
	v_fma_f64 v[82:83], v[148:149], s[16:17], -v[82:83]
	ds_write_b128 v154, v[72:75] offset:192
	v_add_f64 v[88:89], v[88:89], v[100:101]
	v_add_f64 v[80:81], v[82:83], v[80:81]
	v_fma_f64 v[82:83], v[141:142], s[22:23], v[92:93]
	v_fma_f64 v[92:93], v[134:135], s[30:31], -v[94:95]
	v_add_f64 v[88:89], v[96:97], v[88:89]
	v_mul_f64 v[96:97], v[139:140], s[30:31]
	v_add_f64 v[82:83], v[82:83], v[110:111]
	v_add_f64 v[80:81], v[92:93], v[80:81]
	v_mul_f64 v[110:111], v[130:131], s[2:3]
	v_fma_f64 v[98:99], v[116:117], s[40:41], v[96:97]
	v_fma_f64 v[92:93], v[116:117], s[26:27], v[96:97]
	v_add_f64 v[90:91], v[98:99], v[90:91]
	v_mul_f64 v[98:99], v[114:115], s[38:39]
	v_add_f64 v[82:83], v[92:93], v[82:83]
	v_fma_f64 v[100:101], v[128:129], s[4:5], v[98:99]
	v_fma_f64 v[92:93], v[128:129], s[4:5], -v[98:99]
	v_add_f64 v[88:89], v[100:101], v[88:89]
	v_mul_f64 v[100:101], v[130:131], s[4:5]
	v_add_f64 v[80:81], v[92:93], v[80:81]
	v_fma_f64 v[106:107], v[112:113], s[18:19], v[100:101]
	v_fma_f64 v[92:93], v[112:113], s[38:39], v[100:101]
	v_mul_f64 v[100:101], v[150:151], s[30:31]
	v_add_f64 v[90:91], v[106:107], v[90:91]
	v_mul_f64 v[106:107], v[162:163], s[36:37]
	v_add_f64 v[82:83], v[92:93], v[82:83]
	v_fma_f64 v[96:97], v[141:142], s[40:41], v[100:101]
	v_fma_f64 v[100:101], v[141:142], s[26:27], v[100:101]
	;; [unrolled: 1-line block ×3, first 2 shown]
	v_fma_f64 v[92:93], v[156:157], s[14:15], -v[106:107]
	v_mul_f64 v[106:107], v[139:140], s[16:17]
	v_add_f64 v[96:97], v[96:97], v[178:179]
	v_add_f64 v[100:101], v[100:101], v[132:133]
	v_mul_f64 v[178:179], v[158:159], s[12:13]
	v_mul_f64 v[132:133], v[139:140], s[2:3]
	v_add_f64 v[88:89], v[108:109], v[88:89]
	v_mul_f64 v[108:109], v[158:159], s[14:15]
	v_add_f64 v[80:81], v[92:93], v[80:81]
	v_fma_f64 v[176:177], v[160:161], s[34:35], v[108:109]
	v_fma_f64 v[92:93], v[160:161], s[36:37], v[108:109]
	v_mul_f64 v[108:109], v[114:115], s[24:25]
	v_add_f64 v[90:91], v[176:177], v[90:91]
	v_mul_f64 v[176:177], v[170:171], s[24:25]
	v_add_f64 v[82:83], v[92:93], v[82:83]
	v_fma_f64 v[200:201], v[164:165], s[2:3], v[176:177]
	v_fma_f64 v[92:93], v[164:165], s[2:3], -v[176:177]
	v_mul_f64 v[176:177], v[162:163], s[20:21]
	v_add_f64 v[88:89], v[200:201], v[88:89]
	v_mul_f64 v[200:201], v[166:167], s[2:3]
	v_add_f64 v[80:81], v[92:93], v[80:81]
	v_mul_f64 v[92:93], v[152:153], s[26:27]
	v_fma_f64 v[94:95], v[168:169], s[24:25], v[200:201]
	v_fma_f64 v[202:203], v[168:169], s[44:45], v[200:201]
	v_mul_f64 v[200:201], v[170:171], s[18:19]
	v_add_f64 v[82:83], v[94:95], v[82:83]
	v_fma_f64 v[94:95], v[148:149], s[30:31], v[92:93]
	v_fma_f64 v[92:93], v[148:149], s[30:31], -v[92:93]
	v_add_f64 v[90:91], v[202:203], v[90:91]
	ds_write_b128 v154, v[80:83] offset:176
	v_add_f64 v[94:95], v[94:95], v[102:103]
	v_mul_f64 v[102:103], v[118:119], s[42:43]
	v_add_f64 v[92:93], v[92:93], v[180:181]
	v_mul_f64 v[180:181], v[162:163], s[40:41]
	ds_write_b128 v154, v[88:91] offset:32
	v_add_f64 v[90:91], v[122:123], -v[46:47]
	v_add_f64 v[82:83], v[124:125], v[144:145]
	v_fma_f64 v[98:99], v[134:135], s[16:17], v[102:103]
	v_fma_f64 v[102:103], v[134:135], s[16:17], -v[102:103]
	v_add_f64 v[94:95], v[98:99], v[94:95]
	v_fma_f64 v[98:99], v[116:117], s[22:23], v[106:107]
	v_add_f64 v[92:93], v[102:103], v[92:93]
	v_fma_f64 v[102:103], v[116:117], s[42:43], v[106:107]
	v_add_f64 v[96:97], v[98:99], v[96:97]
	v_fma_f64 v[98:99], v[128:129], s[2:3], v[108:109]
	v_add_f64 v[100:101], v[102:103], v[100:101]
	v_fma_f64 v[102:103], v[128:129], s[2:3], -v[108:109]
	v_mul_f64 v[108:109], v[150:151], s[4:5]
	v_add_f64 v[94:95], v[98:99], v[94:95]
	v_fma_f64 v[98:99], v[112:113], s[44:45], v[110:111]
	v_add_f64 v[92:93], v[102:103], v[92:93]
	v_fma_f64 v[102:103], v[112:113], s[24:25], v[110:111]
	v_mul_f64 v[110:111], v[118:119], s[24:25]
	v_add_f64 v[96:97], v[98:99], v[96:97]
	v_fma_f64 v[98:99], v[156:157], s[12:13], v[176:177]
	v_add_f64 v[100:101], v[102:103], v[100:101]
	v_fma_f64 v[102:103], v[156:157], s[12:13], -v[176:177]
	v_fma_f64 v[106:107], v[134:135], s[2:3], v[110:111]
	v_mul_f64 v[176:177], v[114:115], s[34:35]
	v_fma_f64 v[110:111], v[134:135], s[2:3], -v[110:111]
	v_add_f64 v[94:95], v[98:99], v[94:95]
	v_fma_f64 v[98:99], v[160:161], s[28:29], v[178:179]
	v_add_f64 v[92:93], v[102:103], v[92:93]
	v_fma_f64 v[102:103], v[160:161], s[20:21], v[178:179]
	v_mul_f64 v[178:179], v[130:131], s[14:15]
	v_add_f64 v[98:99], v[98:99], v[96:97]
	v_fma_f64 v[96:97], v[164:165], s[4:5], v[200:201]
	v_add_f64 v[100:101], v[102:103], v[100:101]
	v_fma_f64 v[102:103], v[164:165], s[4:5], -v[200:201]
	v_mul_f64 v[200:201], v[170:171], s[28:29]
	v_add_f64 v[96:97], v[96:97], v[94:95]
	v_mul_f64 v[94:95], v[166:167], s[4:5]
	v_add_f64 v[92:93], v[102:103], v[92:93]
	v_fma_f64 v[202:203], v[168:169], s[38:39], v[94:95]
	v_fma_f64 v[94:95], v[168:169], s[18:19], v[94:95]
	v_add_f64 v[98:99], v[202:203], v[98:99]
	v_add_f64 v[94:95], v[94:95], v[100:101]
	v_mul_f64 v[100:101], v[152:153], s[38:39]
	ds_write_b128 v154, v[96:99] offset:48
	v_add_f64 v[98:99], v[120:121], v[44:45]
	v_fma_f64 v[102:103], v[148:149], s[4:5], v[100:101]
	v_fma_f64 v[100:101], v[148:149], s[4:5], -v[100:101]
	ds_write_b128 v154, v[92:95] offset:160
	v_add_f64 v[102:103], v[102:103], v[104:105]
	v_fma_f64 v[104:105], v[141:142], s[18:19], v[108:109]
	v_add_f64 v[100:101], v[100:101], v[188:189]
	v_fma_f64 v[108:109], v[141:142], s[38:39], v[108:109]
	v_add_f64 v[102:103], v[106:107], v[102:103]
	v_add_f64 v[104:105], v[104:105], v[182:183]
	v_fma_f64 v[106:107], v[116:117], s[44:45], v[132:133]
	v_add_f64 v[108:109], v[108:109], v[172:173]
	v_add_f64 v[100:101], v[110:111], v[100:101]
	v_fma_f64 v[110:111], v[116:117], s[24:25], v[132:133]
	v_mul_f64 v[182:183], v[158:159], s[30:31]
	v_mul_f64 v[132:133], v[152:153], s[36:37]
	v_mul_f64 v[172:173], v[150:151], s[14:15]
	v_mul_f64 v[152:153], v[152:153], s[24:25]
	v_mul_f64 v[150:151], v[150:151], s[2:3]
	v_add_f64 v[104:105], v[106:107], v[104:105]
	v_fma_f64 v[106:107], v[128:129], s[14:15], v[176:177]
	v_add_f64 v[108:109], v[110:111], v[108:109]
	v_fma_f64 v[110:111], v[128:129], s[14:15], -v[176:177]
	v_mul_f64 v[176:177], v[118:119], s[20:21]
	v_mul_f64 v[118:119], v[118:119], s[18:19]
	v_add_f64 v[102:103], v[106:107], v[102:103]
	v_fma_f64 v[106:107], v[112:113], s[36:37], v[178:179]
	v_add_f64 v[100:101], v[110:111], v[100:101]
	v_fma_f64 v[110:111], v[112:113], s[34:35], v[178:179]
	v_fma_f64 v[178:179], v[134:135], s[12:13], v[176:177]
	v_add_f64 v[104:105], v[106:107], v[104:105]
	v_fma_f64 v[106:107], v[156:157], s[30:31], v[180:181]
	v_add_f64 v[108:109], v[110:111], v[108:109]
	v_fma_f64 v[110:111], v[156:157], s[30:31], -v[180:181]
	v_add_f64 v[102:103], v[106:107], v[102:103]
	v_fma_f64 v[106:107], v[160:161], s[26:27], v[182:183]
	v_add_f64 v[100:101], v[110:111], v[100:101]
	v_fma_f64 v[110:111], v[160:161], s[40:41], v[182:183]
	;; [unrolled: 2-line block ×3, first 2 shown]
	v_add_f64 v[108:109], v[110:111], v[108:109]
	v_fma_f64 v[110:111], v[164:165], s[12:13], -v[200:201]
	v_add_f64 v[104:105], v[104:105], v[102:103]
	v_mul_f64 v[102:103], v[166:167], s[12:13]
	v_add_f64 v[100:101], v[110:111], v[100:101]
	v_fma_f64 v[110:111], v[141:142], s[34:35], v[172:173]
	v_fma_f64 v[202:203], v[168:169], s[20:21], v[102:103]
	;; [unrolled: 1-line block ×3, first 2 shown]
	v_add_f64 v[110:111], v[110:111], v[184:185]
	v_add_f64 v[106:107], v[202:203], v[106:107]
	;; [unrolled: 1-line block ×3, first 2 shown]
	v_fma_f64 v[108:109], v[148:149], s[14:15], v[132:133]
	v_fma_f64 v[132:133], v[148:149], s[14:15], -v[132:133]
	ds_write_b128 v154, v[104:107] offset:64
	v_add_f64 v[106:107], v[122:123], v[46:47]
	v_add_f64 v[108:109], v[108:109], v[190:191]
	;; [unrolled: 1-line block ×3, first 2 shown]
	ds_write_b128 v154, v[100:103] offset:144
	v_add_f64 v[100:101], v[126:127], -v[146:147]
	v_add_f64 v[102:103], v[60:61], -v[52:53]
	v_add_f64 v[108:109], v[178:179], v[108:109]
	v_mul_f64 v[178:179], v[139:140], s[12:13]
	v_fma_f64 v[180:181], v[116:117], s[28:29], v[178:179]
	v_add_f64 v[110:111], v[180:181], v[110:111]
	v_mul_f64 v[180:181], v[114:115], s[40:41]
	v_mul_f64 v[114:115], v[114:115], s[28:29]
	v_fma_f64 v[182:183], v[128:129], s[30:31], v[180:181]
	v_add_f64 v[108:109], v[182:183], v[108:109]
	v_mul_f64 v[182:183], v[130:131], s[30:31]
	v_fma_f64 v[184:185], v[112:113], s[26:27], v[182:183]
	v_add_f64 v[110:111], v[184:185], v[110:111]
	;; [unrolled: 3-line block ×6, first 2 shown]
	v_fma_f64 v[202:203], v[148:149], s[2:3], v[152:153]
	v_fma_f64 v[148:149], v[148:149], s[2:3], -v[152:153]
	v_fma_f64 v[152:153], v[141:142], s[36:37], v[172:173]
	v_fma_f64 v[172:173], v[141:142], s[44:45], v[150:151]
	;; [unrolled: 1-line block ×3, first 2 shown]
	ds_write_b128 v154, v[108:111] offset:80
	v_add_f64 v[108:109], v[62:63], -v[54:55]
	v_add_f64 v[148:149], v[148:149], v[196:197]
	v_add_f64 v[150:151], v[152:153], v[174:175]
	v_fma_f64 v[174:175], v[134:135], s[12:13], -v[176:177]
	v_fma_f64 v[176:177], v[134:135], s[4:5], v[118:119]
	v_fma_f64 v[118:119], v[134:135], s[4:5], -v[118:119]
	v_mul_f64 v[134:135], v[139:140], s[4:5]
	v_add_f64 v[141:142], v[141:142], v[198:199]
	v_fma_f64 v[139:140], v[116:117], s[20:21], v[178:179]
	v_add_f64 v[152:153], v[202:203], v[194:195]
	v_add_f64 v[172:173], v[172:173], v[186:187]
	;; [unrolled: 1-line block ×4, first 2 shown]
	v_fma_f64 v[178:179], v[116:117], s[38:39], v[134:135]
	v_fma_f64 v[116:117], v[116:117], s[18:19], v[134:135]
	;; [unrolled: 1-line block ×3, first 2 shown]
	v_fma_f64 v[114:115], v[128:129], s[12:13], -v[114:115]
	v_add_f64 v[134:135], v[139:140], v[150:151]
	v_add_f64 v[139:140], v[176:177], v[152:153]
	v_mul_f64 v[176:177], v[90:91], s[34:35]
	v_add_f64 v[150:151], v[178:179], v[172:173]
	v_add_f64 v[116:117], v[116:117], v[141:142]
	v_fma_f64 v[141:142], v[128:129], s[30:31], -v[180:181]
	v_mul_f64 v[128:129], v[130:131], s[12:13]
	v_fma_f64 v[130:131], v[112:113], s[40:41], v[182:183]
	v_add_f64 v[114:115], v[114:115], v[118:119]
	v_fma_f64 v[118:119], v[156:157], s[2:3], -v[184:185]
	v_mul_f64 v[178:179], v[100:101], s[18:19]
	v_fma_f64 v[152:153], v[112:113], s[20:21], v[128:129]
	v_fma_f64 v[112:113], v[112:113], s[28:29], v[128:129]
	v_add_f64 v[128:129], v[141:142], v[132:133]
	v_mul_f64 v[141:142], v[158:159], s[16:17]
	v_add_f64 v[130:131], v[130:131], v[134:135]
	v_add_f64 v[132:133], v[148:149], v[139:140]
	v_fma_f64 v[148:149], v[160:161], s[24:25], v[188:189]
	v_fma_f64 v[72:73], v[82:83], s[4:5], -v[178:179]
	v_add_f64 v[134:135], v[152:153], v[150:151]
	v_add_f64 v[112:113], v[112:113], v[116:117]
	v_mul_f64 v[116:117], v[162:163], s[22:23]
	v_fma_f64 v[150:151], v[160:161], s[42:43], v[141:142]
	v_fma_f64 v[141:142], v[160:161], s[22:23], v[141:142]
	v_add_f64 v[118:119], v[118:119], v[128:129]
	v_add_f64 v[128:129], v[148:149], v[130:131]
	v_fma_f64 v[139:140], v[156:157], s[16:17], v[116:117]
	v_fma_f64 v[116:117], v[156:157], s[16:17], -v[116:117]
	v_add_f64 v[130:131], v[139:140], v[132:133]
	v_add_f64 v[132:133], v[150:151], v[134:135]
	;; [unrolled: 1-line block ×3, first 2 shown]
	v_mul_f64 v[112:113], v[170:171], s[36:37]
	v_add_f64 v[116:117], v[116:117], v[114:115]
	v_fma_f64 v[114:115], v[164:165], s[16:17], -v[190:191]
	v_fma_f64 v[141:142], v[168:169], s[22:23], v[200:201]
	v_mul_f64 v[170:171], v[76:77], s[20:21]
	v_fma_f64 v[139:140], v[164:165], s[14:15], v[112:113]
	v_fma_f64 v[148:149], v[164:165], s[14:15], -v[112:113]
	v_mul_f64 v[112:113], v[166:167], s[14:15]
	v_fma_f64 v[104:105], v[78:79], s[12:13], -v[170:171]
	v_add_f64 v[139:140], v[139:140], v[130:131]
	v_add_f64 v[148:149], v[148:149], v[116:117]
	v_fma_f64 v[150:151], v[168:169], s[34:35], v[112:113]
	v_fma_f64 v[152:153], v[168:169], s[36:37], v[112:113]
	v_add_f64 v[112:113], v[114:115], v[118:119]
	v_add_f64 v[114:115], v[141:142], v[128:129]
	v_add_f64 v[118:119], v[58:59], -v[34:35]
	v_add_f64 v[128:129], v[58:59], v[34:35]
	v_add_f64 v[116:117], v[56:57], v[32:33]
	v_add_f64 v[130:131], v[56:57], -v[32:33]
	v_add_f64 v[141:142], v[150:151], v[132:133]
	v_add_f64 v[150:151], v[152:153], v[134:135]
	v_add_f64 v[132:133], v[70:71], v[42:43]
	ds_write_b128 v154, v[112:115] offset:128
	v_mul_f64 v[152:153], v[118:119], s[44:45]
	v_mul_f64 v[156:157], v[128:129], s[2:3]
	v_add_f64 v[114:115], v[62:63], v[54:55]
	v_mul_f64 v[112:113], v[108:109], s[22:23]
	ds_write_b128 v154, v[139:142] offset:96
	v_add_f64 v[141:142], v[126:127], v[146:147]
	v_mul_f64 v[172:173], v[132:133], s[12:13]
	ds_write_b128 v154, v[148:151] offset:112
	v_fma_f64 v[84:85], v[116:117], s[2:3], -v[152:153]
	v_fma_f64 v[134:135], v[130:131], s[44:45], v[156:157]
	v_mul_f64 v[94:95], v[141:142], s[4:5]
	v_fma_f64 v[110:111], v[86:87], s[20:21], v[172:173]
	v_add_f64 v[88:89], v[36:37], v[84:85]
	v_add_f64 v[96:97], v[38:39], v[134:135]
	v_add_f64 v[134:135], v[120:121], -v[44:45]
	v_mul_f64 v[84:85], v[106:107], s[14:15]
	v_add_f64 v[88:89], v[104:105], v[88:89]
	v_add_f64 v[104:105], v[110:111], v[96:97]
	v_fma_f64 v[110:111], v[98:99], s[14:15], -v[176:177]
	v_fma_f64 v[139:140], v[134:135], s[34:35], v[84:85]
	v_add_f64 v[96:97], v[60:61], v[52:53]
	v_add_f64 v[88:89], v[110:111], v[88:89]
	;; [unrolled: 1-line block ×3, first 2 shown]
	v_mul_f64 v[139:140], v[114:115], s[16:17]
	v_fma_f64 v[92:93], v[96:97], s[16:17], -v[112:113]
	v_add_f64 v[110:111], v[124:125], -v[144:145]
	v_add_f64 v[80:81], v[92:93], v[88:89]
	v_fma_f64 v[88:89], v[102:103], s[22:23], v[139:140]
	v_add_f64 v[72:73], v[72:73], v[80:81]
	v_add_f64 v[74:75], v[88:89], v[104:105]
	v_fma_f64 v[80:81], v[110:111], s[18:19], v[94:95]
	v_add_f64 v[88:89], v[50:51], -v[66:67]
	v_add_f64 v[104:105], v[48:49], -v[64:65]
	v_add_f64 v[74:75], v[80:81], v[74:75]
	v_add_f64 v[80:81], v[48:49], v[64:65]
	v_mul_f64 v[174:175], v[88:89], s[26:27]
	v_fma_f64 v[92:93], v[80:81], s[30:31], -v[174:175]
	v_add_f64 v[72:73], v[92:93], v[72:73]
	v_add_f64 v[92:93], v[50:51], v[66:67]
	v_mul_f64 v[180:181], v[92:93], s[30:31]
	v_fma_f64 v[148:149], v[104:105], s[26:27], v[180:181]
	v_add_f64 v[74:75], v[148:149], v[74:75]
	s_and_saveexec_b32 s1, vcc_lo
	s_cbranch_execz .LBB0_17
; %bb.16:
	v_add_f64 v[58:59], v[38:39], v[58:59]
	v_add_f64 v[56:57], v[36:37], v[56:57]
	v_mul_f64 v[164:165], v[104:105], s[36:37]
	v_mul_f64 v[166:167], v[88:89], s[36:37]
	v_add_f64 v[58:59], v[58:59], v[70:71]
	v_add_f64 v[56:57], v[56:57], v[68:69]
	;; [unrolled: 1-line block ×4, first 2 shown]
	v_mul_f64 v[122:123], v[118:119], s[26:27]
	v_mul_f64 v[120:121], v[130:131], s[44:45]
	v_add_f64 v[58:59], v[58:59], v[62:63]
	v_add_f64 v[56:57], v[56:57], v[60:61]
	v_mul_f64 v[60:61], v[130:131], s[22:23]
	v_mul_f64 v[62:63], v[130:131], s[34:35]
	v_add_f64 v[120:121], v[156:157], -v[120:121]
	v_add_f64 v[58:59], v[58:59], v[126:127]
	v_add_f64 v[56:57], v[56:57], v[124:125]
	v_mul_f64 v[124:125], v[118:119], s[18:19]
	v_mul_f64 v[126:127], v[118:119], s[22:23]
	v_add_f64 v[120:121], v[38:39], v[120:121]
	v_add_f64 v[50:51], v[58:59], v[50:51]
	v_add_f64 v[48:49], v[56:57], v[48:49]
	v_mul_f64 v[56:57], v[130:131], s[26:27]
	v_mul_f64 v[58:59], v[130:131], s[18:19]
	v_add_f64 v[50:51], v[50:51], v[66:67]
	v_add_f64 v[48:49], v[48:49], v[64:65]
	v_mul_f64 v[64:65], v[130:131], s[20:21]
	v_fma_f64 v[66:67], v[128:129], s[30:31], v[56:57]
	v_fma_f64 v[56:57], v[128:129], s[30:31], -v[56:57]
	v_fma_f64 v[68:69], v[128:129], s[4:5], v[58:59]
	v_fma_f64 v[58:59], v[128:129], s[4:5], -v[58:59]
	v_fma_f64 v[130:131], v[116:117], s[30:31], -v[122:123]
	v_fma_f64 v[122:123], v[116:117], s[30:31], v[122:123]
	v_add_f64 v[50:51], v[50:51], v[146:147]
	v_add_f64 v[48:49], v[48:49], v[144:145]
	v_fma_f64 v[70:71], v[128:129], s[12:13], v[64:65]
	v_fma_f64 v[64:65], v[128:129], s[12:13], -v[64:65]
	v_fma_f64 v[144:145], v[116:117], s[4:5], -v[124:125]
	v_fma_f64 v[124:125], v[116:117], s[4:5], v[124:125]
	v_fma_f64 v[146:147], v[116:117], s[16:17], -v[126:127]
	v_fma_f64 v[126:127], v[116:117], s[16:17], v[126:127]
	v_add_f64 v[66:67], v[38:39], v[66:67]
	v_add_f64 v[130:131], v[36:37], v[130:131]
	;; [unrolled: 1-line block ×8, first 2 shown]
	v_fma_f64 v[52:53], v[128:129], s[16:17], v[60:61]
	v_fma_f64 v[54:55], v[128:129], s[16:17], -v[60:61]
	v_fma_f64 v[60:61], v[128:129], s[14:15], v[62:63]
	v_fma_f64 v[62:63], v[128:129], s[14:15], -v[62:63]
	v_mul_f64 v[128:129], v[118:119], s[34:35]
	v_mul_f64 v[118:119], v[118:119], s[20:21]
	v_add_f64 v[144:145], v[36:37], v[144:145]
	v_add_f64 v[124:125], v[36:37], v[124:125]
	;; [unrolled: 1-line block ×8, first 2 shown]
	v_mul_f64 v[48:49], v[86:87], s[24:25]
	v_mul_f64 v[50:51], v[76:77], s[24:25]
	v_add_f64 v[52:53], v[38:39], v[52:53]
	v_add_f64 v[54:55], v[38:39], v[54:55]
	v_fma_f64 v[148:149], v[116:117], s[14:15], -v[128:129]
	v_fma_f64 v[128:129], v[116:117], s[14:15], v[128:129]
	v_fma_f64 v[150:151], v[116:117], s[12:13], -v[118:119]
	v_fma_f64 v[118:119], v[116:117], s[12:13], v[118:119]
	v_mul_f64 v[116:117], v[116:117], s[2:3]
	v_add_f64 v[60:61], v[38:39], v[60:61]
	v_add_f64 v[62:63], v[38:39], v[62:63]
	v_add_f64 v[168:169], v[44:45], v[40:41]
	v_fma_f64 v[40:41], v[132:133], s[2:3], -v[48:49]
	v_fma_f64 v[38:39], v[78:79], s[2:3], -v[50:51]
	v_mul_f64 v[44:45], v[86:87], s[36:37]
	v_add_f64 v[148:149], v[36:37], v[148:149]
	v_add_f64 v[128:129], v[36:37], v[128:129]
	;; [unrolled: 1-line block ×8, first 2 shown]
	v_mul_f64 v[56:57], v[86:87], s[38:39]
	v_add_f64 v[116:117], v[36:37], v[116:117]
	v_fma_f64 v[36:37], v[132:133], s[2:3], v[48:49]
	v_mul_f64 v[48:49], v[76:77], s[36:37]
	v_add_f64 v[36:37], v[36:37], v[66:67]
	v_mul_f64 v[66:67], v[134:135], s[18:19]
	v_fma_f64 v[130:131], v[106:107], s[4:5], v[66:67]
	v_fma_f64 v[66:67], v[106:107], s[4:5], -v[66:67]
	v_add_f64 v[36:37], v[130:131], v[36:37]
	v_mul_f64 v[130:131], v[90:91], s[18:19]
	v_add_f64 v[40:41], v[66:67], v[40:41]
	v_fma_f64 v[152:153], v[98:99], s[4:5], -v[130:131]
	v_fma_f64 v[66:67], v[98:99], s[4:5], v[130:131]
	v_add_f64 v[38:39], v[152:153], v[38:39]
	v_mul_f64 v[152:153], v[102:103], s[28:29]
	v_fma_f64 v[156:157], v[114:115], s[12:13], v[152:153]
	v_add_f64 v[36:37], v[156:157], v[36:37]
	v_mul_f64 v[156:157], v[108:109], s[28:29]
	v_fma_f64 v[158:159], v[96:97], s[12:13], -v[156:157]
	v_add_f64 v[38:39], v[158:159], v[38:39]
	v_mul_f64 v[158:159], v[110:111], s[22:23]
	v_fma_f64 v[160:161], v[141:142], s[16:17], v[158:159]
	v_add_f64 v[36:37], v[160:161], v[36:37]
	v_mul_f64 v[160:161], v[100:101], s[22:23]
	v_fma_f64 v[162:163], v[82:83], s[16:17], -v[160:161]
	v_add_f64 v[162:163], v[162:163], v[38:39]
	v_fma_f64 v[38:39], v[92:93], s[14:15], v[164:165]
	v_add_f64 v[38:39], v[38:39], v[36:37]
	v_fma_f64 v[36:37], v[80:81], s[14:15], -v[166:167]
	v_add_f64 v[36:37], v[36:37], v[162:163]
	v_add_f64 v[162:163], v[46:47], v[42:43]
	v_fma_f64 v[46:47], v[132:133], s[14:15], v[44:45]
	v_fma_f64 v[44:45], v[132:133], s[14:15], -v[44:45]
	v_fma_f64 v[42:43], v[78:79], s[2:3], v[50:51]
	v_fma_f64 v[50:51], v[78:79], s[14:15], -v[48:49]
	v_fma_f64 v[48:49], v[78:79], s[14:15], v[48:49]
	v_add_f64 v[34:35], v[162:163], v[34:35]
	v_add_f64 v[46:47], v[46:47], v[68:69]
	;; [unrolled: 1-line block ×3, first 2 shown]
	v_fma_f64 v[58:59], v[132:133], s[4:5], v[56:57]
	v_add_f64 v[42:43], v[42:43], v[122:123]
	v_fma_f64 v[56:57], v[132:133], s[4:5], -v[56:57]
	v_add_f64 v[48:49], v[48:49], v[124:125]
	v_add_f64 v[50:51], v[50:51], v[144:145]
	;; [unrolled: 1-line block ×3, first 2 shown]
	v_mul_f64 v[58:59], v[76:77], s[38:39]
	v_add_f64 v[54:55], v[56:57], v[54:55]
	v_add_f64 v[42:43], v[66:67], v[42:43]
	v_mul_f64 v[66:67], v[134:135], s[20:21]
	v_fma_f64 v[56:57], v[78:79], s[4:5], v[58:59]
	v_fma_f64 v[68:69], v[78:79], s[4:5], -v[58:59]
	v_mul_f64 v[58:59], v[86:87], s[26:27]
	v_add_f64 v[56:57], v[56:57], v[126:127]
	v_fma_f64 v[126:127], v[106:107], s[12:13], v[66:67]
	v_fma_f64 v[66:67], v[106:107], s[12:13], -v[66:67]
	v_fma_f64 v[122:123], v[132:133], s[30:31], v[58:59]
	v_add_f64 v[68:69], v[68:69], v[146:147]
	v_add_f64 v[46:47], v[126:127], v[46:47]
	v_mul_f64 v[126:127], v[90:91], s[20:21]
	v_add_f64 v[44:45], v[66:67], v[44:45]
	v_add_f64 v[60:61], v[122:123], v[60:61]
	v_mul_f64 v[122:123], v[76:77], s[26:27]
	v_fma_f64 v[66:67], v[98:99], s[12:13], v[126:127]
	v_fma_f64 v[130:131], v[98:99], s[12:13], -v[126:127]
	v_fma_f64 v[124:125], v[78:79], s[30:31], -v[122:123]
	v_add_f64 v[48:49], v[66:67], v[48:49]
	v_mul_f64 v[66:67], v[134:135], s[24:25]
	v_add_f64 v[50:51], v[130:131], v[50:51]
	v_add_f64 v[124:125], v[124:125], v[148:149]
	v_fma_f64 v[126:127], v[106:107], s[2:3], v[66:67]
	v_fma_f64 v[66:67], v[106:107], s[2:3], -v[66:67]
	v_add_f64 v[52:53], v[126:127], v[52:53]
	v_mul_f64 v[126:127], v[90:91], s[24:25]
	v_add_f64 v[54:55], v[66:67], v[54:55]
	v_fma_f64 v[66:67], v[98:99], s[2:3], v[126:127]
	v_fma_f64 v[130:131], v[98:99], s[2:3], -v[126:127]
	v_add_f64 v[56:57], v[66:67], v[56:57]
	v_mul_f64 v[66:67], v[134:135], s[42:43]
	v_add_f64 v[68:69], v[130:131], v[68:69]
	v_fma_f64 v[126:127], v[106:107], s[16:17], v[66:67]
	v_add_f64 v[60:61], v[126:127], v[60:61]
	v_mul_f64 v[126:127], v[90:91], s[42:43]
	v_fma_f64 v[130:131], v[98:99], s[16:17], -v[126:127]
	v_add_f64 v[124:125], v[130:131], v[124:125]
	v_fma_f64 v[130:131], v[114:115], s[12:13], -v[152:153]
	v_add_f64 v[40:41], v[130:131], v[40:41]
	v_fma_f64 v[130:131], v[96:97], s[12:13], v[156:157]
	v_add_f64 v[42:43], v[130:131], v[42:43]
	v_mul_f64 v[130:131], v[102:103], s[40:41]
	v_fma_f64 v[144:145], v[114:115], s[30:31], v[130:131]
	v_fma_f64 v[130:131], v[114:115], s[30:31], -v[130:131]
	v_add_f64 v[46:47], v[144:145], v[46:47]
	v_mul_f64 v[144:145], v[108:109], s[40:41]
	v_add_f64 v[44:45], v[130:131], v[44:45]
	v_fma_f64 v[130:131], v[96:97], s[30:31], v[144:145]
	v_fma_f64 v[146:147], v[96:97], s[30:31], -v[144:145]
	v_add_f64 v[48:49], v[130:131], v[48:49]
	v_mul_f64 v[130:131], v[102:103], s[34:35]
	v_add_f64 v[50:51], v[146:147], v[50:51]
	;; [unrolled: 5-line block ×4, first 2 shown]
	v_fma_f64 v[144:145], v[114:115], s[2:3], v[130:131]
	v_add_f64 v[60:61], v[144:145], v[60:61]
	v_fma_f64 v[144:145], v[141:142], s[16:17], -v[158:159]
	v_add_f64 v[40:41], v[144:145], v[40:41]
	v_fma_f64 v[144:145], v[82:83], s[16:17], v[160:161]
	v_add_f64 v[144:145], v[144:145], v[42:43]
	v_mul_f64 v[42:43], v[110:111], s[24:25]
	v_fma_f64 v[146:147], v[141:142], s[2:3], v[42:43]
	v_fma_f64 v[42:43], v[141:142], s[2:3], -v[42:43]
	v_add_f64 v[46:47], v[146:147], v[46:47]
	v_mul_f64 v[146:147], v[100:101], s[24:25]
	v_fma_f64 v[148:149], v[82:83], s[2:3], -v[146:147]
	v_add_f64 v[50:51], v[148:149], v[50:51]
	v_add_f64 v[148:149], v[42:43], v[44:45]
	v_fma_f64 v[42:43], v[82:83], s[2:3], v[146:147]
	v_add_f64 v[48:49], v[42:43], v[48:49]
	v_mul_f64 v[42:43], v[110:111], s[40:41]
	v_fma_f64 v[44:45], v[141:142], s[30:31], v[42:43]
	v_fma_f64 v[42:43], v[141:142], s[30:31], -v[42:43]
	v_add_f64 v[146:147], v[44:45], v[52:53]
	v_mul_f64 v[44:45], v[100:101], s[40:41]
	v_fma_f64 v[52:53], v[82:83], s[30:31], -v[44:45]
	v_add_f64 v[68:69], v[52:53], v[68:69]
	v_add_f64 v[52:53], v[42:43], v[54:55]
	v_fma_f64 v[42:43], v[82:83], s[30:31], v[44:45]
	v_fma_f64 v[54:55], v[132:133], s[30:31], -v[58:59]
	v_add_f64 v[152:153], v[42:43], v[56:57]
	v_add_f64 v[54:55], v[54:55], v[62:63]
	v_fma_f64 v[56:57], v[106:107], s[16:17], -v[66:67]
	v_mul_f64 v[42:43], v[108:109], s[24:25]
	v_fma_f64 v[62:63], v[98:99], s[16:17], v[126:127]
	v_mul_f64 v[66:67], v[134:135], s[26:27]
	v_mul_f64 v[108:109], v[108:109], s[38:39]
	v_fma_f64 v[126:127], v[80:81], s[14:15], v[166:167]
	v_add_f64 v[54:55], v[56:57], v[54:55]
	v_fma_f64 v[56:57], v[114:115], s[2:3], -v[130:131]
	v_fma_f64 v[44:45], v[96:97], s[2:3], -v[42:43]
	v_fma_f64 v[42:43], v[96:97], s[2:3], v[42:43]
	v_add_f64 v[54:55], v[56:57], v[54:55]
	v_mul_f64 v[56:57], v[110:111], s[20:21]
	v_add_f64 v[44:45], v[44:45], v[124:125]
	v_mul_f64 v[124:125], v[104:105], s[28:29]
	v_fma_f64 v[58:59], v[141:142], s[12:13], -v[56:57]
	v_fma_f64 v[56:57], v[141:142], s[12:13], v[56:57]
	v_add_f64 v[58:59], v[58:59], v[54:55]
	v_fma_f64 v[54:55], v[78:79], s[30:31], v[122:123]
	v_fma_f64 v[122:123], v[92:93], s[14:15], -v[164:165]
	v_add_f64 v[54:55], v[54:55], v[128:129]
	v_mul_f64 v[128:129], v[88:89], s[18:19]
	v_add_f64 v[54:55], v[62:63], v[54:55]
	v_add_f64 v[42:43], v[42:43], v[54:55]
	v_mul_f64 v[54:55], v[86:87], s[22:23]
	v_fma_f64 v[62:63], v[132:133], s[16:17], v[54:55]
	v_fma_f64 v[54:55], v[132:133], s[16:17], -v[54:55]
	v_add_f64 v[62:63], v[62:63], v[70:71]
	v_fma_f64 v[70:71], v[106:107], s[30:31], v[66:67]
	v_add_f64 v[54:55], v[54:55], v[64:65]
	v_mul_f64 v[64:65], v[76:77], s[22:23]
	v_mul_f64 v[76:77], v[86:87], s[20:21]
	;; [unrolled: 1-line block ×3, first 2 shown]
	v_fma_f64 v[66:67], v[106:107], s[30:31], -v[66:67]
	v_mul_f64 v[106:107], v[102:103], s[38:39]
	v_mul_f64 v[102:103], v[102:103], s[22:23]
	v_add_f64 v[62:63], v[70:71], v[62:63]
	v_fma_f64 v[70:71], v[78:79], s[16:17], v[64:65]
	v_fma_f64 v[64:65], v[78:79], s[16:17], -v[64:65]
	v_add_f64 v[84:85], v[84:85], -v[86:87]
	v_mul_f64 v[78:79], v[78:79], s[12:13]
	v_mul_f64 v[86:87], v[90:91], s[26:27]
	v_add_f64 v[76:77], v[172:173], -v[76:77]
	v_add_f64 v[102:103], v[139:140], -v[102:103]
	v_add_f64 v[54:55], v[66:67], v[54:55]
	v_mul_f64 v[66:67], v[82:83], s[4:5]
	v_add_f64 v[70:71], v[70:71], v[118:119]
	v_fma_f64 v[118:119], v[114:115], s[4:5], v[106:107]
	v_add_f64 v[64:65], v[64:65], v[150:151]
	v_add_f64 v[78:79], v[78:79], v[170:171]
	v_fma_f64 v[90:91], v[98:99], s[30:31], -v[86:87]
	v_fma_f64 v[86:87], v[98:99], s[30:31], v[86:87]
	v_mul_f64 v[98:99], v[98:99], s[14:15]
	v_add_f64 v[76:77], v[76:77], v[120:121]
	v_fma_f64 v[106:107], v[114:115], s[4:5], -v[106:107]
	v_mul_f64 v[114:115], v[110:111], s[36:37]
	v_mul_f64 v[110:111], v[110:111], s[18:19]
	;; [unrolled: 1-line block ×3, first 2 shown]
	v_add_f64 v[66:67], v[66:67], v[178:179]
	v_add_f64 v[62:63], v[118:119], v[62:63]
	;; [unrolled: 1-line block ×3, first 2 shown]
	v_mul_f64 v[116:117], v[96:97], s[16:17]
	v_add_f64 v[70:71], v[86:87], v[70:71]
	v_add_f64 v[98:99], v[98:99], v[176:177]
	;; [unrolled: 1-line block ×3, first 2 shown]
	v_mul_f64 v[84:85], v[104:105], s[22:23]
	v_fma_f64 v[86:87], v[96:97], s[4:5], v[108:109]
	v_fma_f64 v[96:97], v[96:97], s[4:5], -v[108:109]
	v_mul_f64 v[108:109], v[88:89], s[22:23]
	v_add_f64 v[64:65], v[90:91], v[64:65]
	v_add_f64 v[94:95], v[94:95], -v[110:111]
	v_fma_f64 v[90:91], v[141:142], s[14:15], v[114:115]
	v_fma_f64 v[114:115], v[141:142], s[14:15], -v[114:115]
	v_add_f64 v[54:55], v[106:107], v[54:55]
	v_mul_f64 v[106:107], v[88:89], s[28:29]
	v_mul_f64 v[110:111], v[104:105], s[18:19]
	;; [unrolled: 1-line block ×3, first 2 shown]
	v_add_f64 v[120:121], v[120:121], v[174:175]
	v_add_f64 v[112:113], v[116:117], v[112:113]
	v_mul_f64 v[116:117], v[104:105], s[26:27]
	v_add_f64 v[78:79], v[98:99], v[78:79]
	v_mul_f64 v[98:99], v[100:101], s[36:37]
	v_mul_f64 v[100:101], v[100:101], s[20:21]
	v_add_f64 v[76:77], v[102:103], v[76:77]
	v_fma_f64 v[102:103], v[92:93], s[16:17], v[84:85]
	v_add_f64 v[70:71], v[86:87], v[70:71]
	v_fma_f64 v[118:119], v[80:81], s[16:17], -v[108:109]
	v_fma_f64 v[84:85], v[92:93], s[16:17], -v[84:85]
	v_mul_f64 v[104:105], v[104:105], s[24:25]
	v_add_f64 v[64:65], v[96:97], v[64:65]
	v_add_f64 v[114:115], v[114:115], v[54:55]
	v_fma_f64 v[96:97], v[80:81], s[12:13], -v[106:107]
	v_fma_f64 v[130:131], v[92:93], s[4:5], -v[110:111]
	v_fma_f64 v[134:135], v[80:81], s[2:3], v[88:89]
	v_fma_f64 v[106:107], v[80:81], s[12:13], v[106:107]
	v_fma_f64 v[108:109], v[80:81], s[16:17], v[108:109]
	v_fma_f64 v[110:111], v[92:93], s[4:5], v[110:111]
	v_add_f64 v[90:91], v[90:91], v[62:63]
	v_add_f64 v[116:117], v[180:181], -v[116:117]
	v_add_f64 v[78:79], v[112:113], v[78:79]
	v_fma_f64 v[112:113], v[82:83], s[14:15], v[98:99]
	v_fma_f64 v[86:87], v[82:83], s[12:13], v[100:101]
	v_fma_f64 v[100:101], v[82:83], s[12:13], -v[100:101]
	v_fma_f64 v[82:83], v[82:83], s[14:15], -v[98:99]
	v_add_f64 v[76:77], v[94:95], v[76:77]
	v_fma_f64 v[94:95], v[80:81], s[4:5], v[128:129]
	v_fma_f64 v[98:99], v[92:93], s[12:13], v[124:125]
	v_fma_f64 v[132:133], v[92:93], s[2:3], -v[104:105]
	v_fma_f64 v[124:125], v[92:93], s[12:13], -v[124:125]
	;; [unrolled: 1-line block ×3, first 2 shown]
	v_fma_f64 v[92:93], v[92:93], s[2:3], v[104:105]
	v_fma_f64 v[80:81], v[80:81], s[2:3], -v[88:89]
	v_add_f64 v[58:59], v[130:131], v[58:59]
	v_add_f64 v[46:47], v[102:103], v[46:47]
	;; [unrolled: 1-line block ×10, first 2 shown]
	s_clause 0x1
	buffer_load_dword v84, off, s[48:51], 0 offset:8
	buffer_load_dword v85, off, s[48:51], 0 offset:900
	v_add_f64 v[112:113], v[56:57], v[60:61]
	v_add_f64 v[88:89], v[82:83], v[64:65]
	;; [unrolled: 1-line block ×16, first 2 shown]
	s_waitcnt vmcnt(0)
	v_lshl_add_u32 v84, v85, 4, v84
	ds_write_b128 v84, v[32:35]
	ds_write_b128 v84, v[64:67] offset:16
	ds_write_b128 v84, v[60:63] offset:32
	;; [unrolled: 1-line block ×12, first 2 shown]
.LBB0_17:
	s_or_b32 exec_lo, exec_lo, s1
	s_waitcnt lgkmcnt(0)
	s_barrier
	buffer_gl0_inv
	ds_read_b128 v[32:35], v143 offset:3120
	ds_read_b128 v[36:39], v143 offset:6240
	;; [unrolled: 1-line block ×3, first 2 shown]
	s_clause 0x3
	buffer_load_dword v66, off, s[48:51], 0 offset:456
	buffer_load_dword v67, off, s[48:51], 0 offset:460
	;; [unrolled: 1-line block ×4, first 2 shown]
	ds_read_b128 v[44:47], v143 offset:12480
	s_mov_b32 s12, 0x134454ff
	s_mov_b32 s13, 0xbfee6f0e
	;; [unrolled: 1-line block ×10, first 2 shown]
	s_waitcnt vmcnt(0) lgkmcnt(3)
	v_mul_f64 v[52:53], v[68:69], v[34:35]
	v_mul_f64 v[54:55], v[68:69], v[32:33]
	s_clause 0x3
	buffer_load_dword v68, off, s[48:51], 0 offset:424
	buffer_load_dword v69, off, s[48:51], 0 offset:428
	;; [unrolled: 1-line block ×4, first 2 shown]
	ds_read_b128 v[48:51], v143 offset:3744
	s_clause 0x3
	buffer_load_dword v62, off, s[48:51], 0 offset:408
	buffer_load_dword v63, off, s[48:51], 0 offset:412
	buffer_load_dword v64, off, s[48:51], 0 offset:416
	buffer_load_dword v65, off, s[48:51], 0 offset:420
	v_fma_f64 v[76:77], v[66:67], v[32:33], v[52:53]
	v_fma_f64 v[78:79], v[66:67], v[34:35], -v[54:55]
	ds_read_b128 v[32:35], v143 offset:6864
	s_waitcnt vmcnt(4) lgkmcnt(4)
	v_mul_f64 v[56:57], v[70:71], v[38:39]
	v_mul_f64 v[58:59], v[70:71], v[36:37]
	s_waitcnt vmcnt(0) lgkmcnt(3)
	v_mul_f64 v[60:61], v[64:65], v[42:43]
	v_mul_f64 v[52:53], v[64:65], v[40:41]
	s_clause 0x3
	buffer_load_dword v64, off, s[48:51], 0 offset:392
	buffer_load_dword v65, off, s[48:51], 0 offset:396
	;; [unrolled: 1-line block ×4, first 2 shown]
	v_fma_f64 v[80:81], v[68:69], v[36:37], v[56:57]
	v_fma_f64 v[82:83], v[68:69], v[38:39], -v[58:59]
	ds_read_b128 v[36:39], v143 offset:9984
	s_clause 0x3
	buffer_load_dword v84, off, s[48:51], 0 offset:376
	buffer_load_dword v85, off, s[48:51], 0 offset:380
	;; [unrolled: 1-line block ×4, first 2 shown]
	v_fma_f64 v[128:129], v[62:63], v[40:41], v[60:61]
	v_fma_f64 v[130:131], v[62:63], v[42:43], -v[52:53]
	ds_read_b128 v[40:43], v143 offset:13104
	s_clause 0x3
	buffer_load_dword v68, off, s[48:51], 0 offset:324
	buffer_load_dword v69, off, s[48:51], 0 offset:328
	buffer_load_dword v70, off, s[48:51], 0 offset:332
	buffer_load_dword v71, off, s[48:51], 0 offset:336
	s_waitcnt vmcnt(8) lgkmcnt(4)
	v_mul_f64 v[54:55], v[66:67], v[46:47]
	v_mul_f64 v[56:57], v[66:67], v[44:45]
	s_waitcnt vmcnt(4) lgkmcnt(3)
	v_mul_f64 v[58:59], v[86:87], v[50:51]
	v_mul_f64 v[52:53], v[86:87], v[48:49]
	v_fma_f64 v[132:133], v[64:65], v[44:45], v[54:55]
	v_fma_f64 v[134:135], v[64:65], v[46:47], -v[56:57]
	s_waitcnt vmcnt(0) lgkmcnt(2)
	v_mul_f64 v[62:63], v[70:71], v[34:35]
	v_mul_f64 v[54:55], v[70:71], v[32:33]
	ds_read_b128 v[44:47], v143 offset:4368
	s_clause 0x3
	buffer_load_dword v64, off, s[48:51], 0 offset:308
	buffer_load_dword v65, off, s[48:51], 0 offset:312
	;; [unrolled: 1-line block ×4, first 2 shown]
	v_fma_f64 v[70:71], v[84:85], v[48:49], v[58:59]
	v_fma_f64 v[60:61], v[84:85], v[50:51], -v[52:53]
	ds_read_b128 v[48:51], v143 offset:7488
	s_clause 0x7
	buffer_load_dword v90, off, s[48:51], 0 offset:472
	buffer_load_dword v91, off, s[48:51], 0 offset:476
	;; [unrolled: 1-line block ×8, first 2 shown]
	s_waitcnt vmcnt(8) lgkmcnt(3)
	v_mul_f64 v[56:57], v[66:67], v[38:39]
	v_mul_f64 v[52:53], v[66:67], v[36:37]
	v_fma_f64 v[66:67], v[68:69], v[32:33], v[62:63]
	v_fma_f64 v[62:63], v[68:69], v[34:35], -v[54:55]
	ds_read_b128 v[32:35], v143 offset:10608
	s_waitcnt vmcnt(4) lgkmcnt(3)
	v_mul_f64 v[58:59], v[92:93], v[42:43]
	v_mul_f64 v[54:55], v[92:93], v[40:41]
	s_clause 0x3
	buffer_load_dword v92, off, s[48:51], 0 offset:440
	buffer_load_dword v93, off, s[48:51], 0 offset:444
	buffer_load_dword v94, off, s[48:51], 0 offset:448
	buffer_load_dword v95, off, s[48:51], 0 offset:452
	s_waitcnt vmcnt(4) lgkmcnt(2)
	v_mul_f64 v[84:85], v[98:99], v[46:47]
	v_mul_f64 v[86:87], v[98:99], v[44:45]
	v_fma_f64 v[68:69], v[64:65], v[36:37], v[56:57]
	v_fma_f64 v[64:65], v[64:65], v[38:39], -v[52:53]
	v_fma_f64 v[56:57], v[90:91], v[40:41], v[58:59]
	v_fma_f64 v[58:59], v[90:91], v[42:43], -v[54:55]
	ds_read_b128 v[36:39], v143 offset:13728
	ds_read_b128 v[40:43], v143 offset:4992
	v_fma_f64 v[122:123], v[96:97], v[44:45], v[84:85]
	v_fma_f64 v[84:85], v[96:97], v[46:47], -v[86:87]
	s_clause 0x3
	buffer_load_dword v96, off, s[48:51], 0 offset:360
	buffer_load_dword v97, off, s[48:51], 0 offset:364
	;; [unrolled: 1-line block ×4, first 2 shown]
	ds_read_b128 v[44:47], v143 offset:8112
	s_waitcnt vmcnt(4) lgkmcnt(4)
	v_mul_f64 v[52:53], v[94:95], v[50:51]
	v_mul_f64 v[88:89], v[94:95], v[48:49]
	v_fma_f64 v[116:117], v[92:93], v[48:49], v[52:53]
	v_fma_f64 v[86:87], v[92:93], v[50:51], -v[88:89]
	s_clause 0x3
	buffer_load_dword v92, off, s[48:51], 0 offset:340
	buffer_load_dword v93, off, s[48:51], 0 offset:344
	;; [unrolled: 1-line block ×4, first 2 shown]
	s_waitcnt vmcnt(4) lgkmcnt(3)
	v_mul_f64 v[54:55], v[98:99], v[34:35]
	v_mul_f64 v[90:91], v[98:99], v[32:33]
	s_clause 0x3
	buffer_load_dword v100, off, s[48:51], 0 offset:632
	buffer_load_dword v101, off, s[48:51], 0 offset:636
	;; [unrolled: 1-line block ×4, first 2 shown]
	v_fma_f64 v[124:125], v[96:97], v[32:33], v[54:55]
	v_fma_f64 v[118:119], v[96:97], v[34:35], -v[90:91]
	ds_read_b128 v[32:35], v143 offset:11232
	s_waitcnt vmcnt(4) lgkmcnt(3)
	v_mul_f64 v[48:49], v[94:95], v[38:39]
	v_mul_f64 v[50:51], v[94:95], v[36:37]
	s_clause 0x3
	buffer_load_dword v94, off, s[48:51], 0 offset:616
	buffer_load_dword v95, off, s[48:51], 0 offset:620
	;; [unrolled: 1-line block ×4, first 2 shown]
	s_waitcnt vmcnt(4) lgkmcnt(2)
	v_mul_f64 v[52:53], v[102:103], v[42:43]
	v_mul_f64 v[88:89], v[102:103], v[40:41]
	v_fma_f64 v[126:127], v[92:93], v[36:37], v[48:49]
	v_fma_f64 v[120:121], v[92:93], v[38:39], -v[50:51]
	ds_read_b128 v[36:39], v143 offset:14352
	ds_read_b128 v[48:51], v143 offset:5616
	v_fma_f64 v[98:99], v[100:101], v[40:41], v[52:53]
	s_clause 0x3
	buffer_load_dword v104, off, s[48:51], 0 offset:600
	buffer_load_dword v105, off, s[48:51], 0 offset:604
	;; [unrolled: 1-line block ×4, first 2 shown]
	v_add_f64 v[162:163], v[122:123], v[126:127]
	v_add_f64 v[160:161], v[84:85], -v[120:121]
	s_waitcnt vmcnt(4) lgkmcnt(3)
	v_mul_f64 v[54:55], v[96:97], v[46:47]
	v_mul_f64 v[90:91], v[96:97], v[44:45]
	v_fma_f64 v[96:97], v[100:101], v[42:43], -v[88:89]
	ds_read_b128 v[40:43], v143 offset:8736
	s_clause 0x7
	buffer_load_dword v108, off, s[48:51], 0 offset:584
	buffer_load_dword v109, off, s[48:51], 0 offset:588
	;; [unrolled: 1-line block ×8, first 2 shown]
	v_fma_f64 v[102:103], v[94:95], v[44:45], v[54:55]
	v_fma_f64 v[100:101], v[94:95], v[46:47], -v[90:91]
	s_waitcnt vmcnt(8) lgkmcnt(3)
	v_mul_f64 v[52:53], v[106:107], v[34:35]
	ds_read_b128 v[44:47], v143 offset:11856
	s_clause 0x3
	buffer_load_dword v139, off, s[48:51], 0 offset:520
	buffer_load_dword v140, off, s[48:51], 0 offset:524
	;; [unrolled: 1-line block ×4, first 2 shown]
	v_mul_f64 v[88:89], v[106:107], v[32:33]
	s_waitcnt vmcnt(8) lgkmcnt(3)
	v_mul_f64 v[54:55], v[110:111], v[38:39]
	v_mul_f64 v[90:91], v[110:111], v[36:37]
	v_fma_f64 v[110:111], v[104:105], v[32:33], v[52:53]
	s_waitcnt vmcnt(4) lgkmcnt(2)
	v_mul_f64 v[92:93], v[146:147], v[50:51]
	v_mul_f64 v[94:95], v[146:147], v[48:49]
	v_fma_f64 v[104:105], v[104:105], v[34:35], -v[88:89]
	v_fma_f64 v[112:113], v[108:109], v[36:37], v[54:55]
	v_fma_f64 v[108:109], v[108:109], v[38:39], -v[90:91]
	ds_read_b128 v[36:39], v143 offset:14976
	ds_read_b128 v[52:55], v143
	s_clause 0x7
	buffer_load_dword v150, off, s[48:51], 0 offset:552
	buffer_load_dword v151, off, s[48:51], 0 offset:556
	;; [unrolled: 1-line block ×8, first 2 shown]
	s_waitcnt vmcnt(8) lgkmcnt(3)
	v_mul_f64 v[88:89], v[141:142], v[42:43]
	v_mul_f64 v[106:107], v[141:142], v[40:41]
	v_add_f64 v[90:91], v[80:81], v[128:129]
	v_fma_f64 v[34:35], v[144:145], v[48:49], v[92:93]
	v_fma_f64 v[32:33], v[144:145], v[50:51], -v[94:95]
	v_add_f64 v[50:51], v[76:77], v[132:133]
	v_add_f64 v[144:145], v[78:79], -v[134:135]
	v_fma_f64 v[92:93], v[139:140], v[40:41], v[88:89]
	v_fma_f64 v[88:89], v[139:140], v[42:43], -v[106:107]
	s_waitcnt lgkmcnt(0)
	v_add_f64 v[139:140], v[52:53], v[76:77]
	v_fma_f64 v[141:142], v[90:91], -0.5, v[52:53]
	s_waitcnt vmcnt(4)
	v_mul_f64 v[48:49], v[152:153], v[46:47]
	v_mul_f64 v[114:115], v[152:153], v[44:45]
	s_waitcnt vmcnt(0)
	v_mul_f64 v[40:41], v[148:149], v[38:39]
	v_mul_f64 v[42:43], v[148:149], v[36:37]
	v_add_f64 v[148:149], v[76:77], -v[132:133]
	v_fma_f64 v[94:95], v[150:151], v[44:45], v[48:49]
	v_add_f64 v[44:45], v[82:83], -v[130:131]
	v_fma_f64 v[48:49], v[50:51], -0.5, v[52:53]
	v_fma_f64 v[90:91], v[150:151], v[46:47], -v[114:115]
	v_add_f64 v[46:47], v[82:83], v[130:131]
	v_add_f64 v[50:51], v[78:79], v[134:135]
	v_fma_f64 v[114:115], v[146:147], v[36:37], v[40:41]
	v_fma_f64 v[106:107], v[146:147], v[38:39], -v[42:43]
	v_add_f64 v[36:37], v[139:140], v[80:81]
	v_add_f64 v[38:39], v[54:55], v[78:79]
	v_fma_f64 v[40:41], v[144:145], s[12:13], v[141:142]
	v_add_f64 v[42:43], v[76:77], -v[80:81]
	v_add_f64 v[52:53], v[132:133], -v[128:129]
	v_fma_f64 v[139:140], v[144:145], s[4:5], v[141:142]
	v_add_f64 v[146:147], v[80:81], -v[76:77]
	v_add_f64 v[80:81], v[80:81], -v[128:129]
	v_add_f64 v[150:151], v[66:67], v[68:69]
	v_fma_f64 v[141:142], v[44:45], s[4:5], v[48:49]
	v_fma_f64 v[48:49], v[44:45], s[12:13], v[48:49]
	v_fma_f64 v[46:47], v[46:47], -0.5, v[54:55]
	v_fma_f64 v[50:51], v[50:51], -0.5, v[54:55]
	v_add_f64 v[54:55], v[128:129], -v[132:133]
	v_add_f64 v[36:37], v[36:37], v[128:129]
	v_add_f64 v[38:39], v[38:39], v[82:83]
	v_fma_f64 v[40:41], v[44:45], s[2:3], v[40:41]
	v_add_f64 v[42:43], v[42:43], v[52:53]
	v_fma_f64 v[44:45], v[44:45], s[14:15], v[139:140]
	v_add_f64 v[52:53], v[78:79], -v[82:83]
	v_add_f64 v[82:83], v[82:83], -v[78:79]
	ds_read_b128 v[76:79], v143 offset:624
	v_fma_f64 v[128:129], v[144:145], s[2:3], v[141:142]
	v_fma_f64 v[139:140], v[144:145], s[14:15], v[48:49]
	;; [unrolled: 1-line block ×3, first 2 shown]
	v_add_f64 v[141:142], v[134:135], -v[130:131]
	v_add_f64 v[54:55], v[146:147], v[54:55]
	v_fma_f64 v[46:47], v[148:149], s[12:13], v[46:47]
	v_fma_f64 v[144:145], v[80:81], s[12:13], v[50:51]
	v_add_f64 v[146:147], v[130:131], -v[134:135]
	v_fma_f64 v[50:51], v[80:81], s[4:5], v[50:51]
	v_add_f64 v[38:39], v[38:39], v[130:131]
	v_fma_f64 v[130:131], v[80:81], s[14:15], v[48:49]
	v_add_f64 v[141:142], v[52:53], v[141:142]
	v_add_f64 v[52:53], v[36:37], v[132:133]
	v_fma_f64 v[46:47], v[80:81], s[2:3], v[46:47]
	v_fma_f64 v[80:81], v[148:149], s[14:15], v[144:145]
	v_add_f64 v[82:83], v[82:83], v[146:147]
	v_fma_f64 v[144:145], v[148:149], s[2:3], v[50:51]
	s_waitcnt lgkmcnt(0)
	v_fma_f64 v[146:147], v[150:151], -0.5, v[76:77]
	v_add_f64 v[148:149], v[60:61], -v[58:59]
	v_add_f64 v[150:151], v[70:71], v[56:57]
	v_fma_f64 v[48:49], v[42:43], s[16:17], v[40:41]
	v_fma_f64 v[36:37], v[42:43], s[16:17], v[44:45]
	v_fma_f64 v[44:45], v[54:55], s[16:17], v[128:129]
	v_fma_f64 v[40:41], v[54:55], s[16:17], v[139:140]
	v_add_f64 v[54:55], v[38:39], v[134:135]
	v_add_f64 v[139:140], v[66:67], -v[70:71]
	v_add_f64 v[128:129], v[62:63], -v[64:65]
	;; [unrolled: 1-line block ×3, first 2 shown]
	v_fma_f64 v[50:51], v[141:142], s[16:17], v[130:131]
	v_add_f64 v[130:131], v[70:71], -v[66:67]
	v_fma_f64 v[38:39], v[141:142], s[16:17], v[46:47]
	v_add_f64 v[141:142], v[68:69], -v[56:57]
	v_fma_f64 v[46:47], v[82:83], s[16:17], v[80:81]
	v_fma_f64 v[42:43], v[82:83], s[16:17], v[144:145]
	v_add_f64 v[80:81], v[76:77], v[70:71]
	v_add_f64 v[144:145], v[62:63], v[64:65]
	v_fma_f64 v[82:83], v[148:149], s[12:13], v[146:147]
	v_fma_f64 v[134:135], v[148:149], s[4:5], v[146:147]
	v_fma_f64 v[76:77], v[150:151], -0.5, v[76:77]
	v_add_f64 v[70:71], v[70:71], -v[56:57]
	v_add_f64 v[146:147], v[58:59], -v[64:65]
	v_add_f64 v[132:133], v[130:131], v[132:133]
	v_add_f64 v[139:140], v[139:140], v[141:142]
	;; [unrolled: 1-line block ×3, first 2 shown]
	v_fma_f64 v[141:142], v[144:145], -0.5, v[78:79]
	v_add_f64 v[144:145], v[60:61], v[58:59]
	v_fma_f64 v[82:83], v[128:129], s[2:3], v[82:83]
	v_fma_f64 v[134:135], v[128:129], s[14:15], v[134:135]
	;; [unrolled: 1-line block ×4, first 2 shown]
	v_add_f64 v[128:129], v[78:79], v[60:61]
	v_add_f64 v[66:67], v[66:67], -v[68:69]
	v_add_f64 v[80:81], v[80:81], v[68:69]
	v_fma_f64 v[68:69], v[70:71], s[4:5], v[141:142]
	v_fma_f64 v[78:79], v[144:145], -0.5, v[78:79]
	v_add_f64 v[144:145], v[60:61], -v[62:63]
	v_fma_f64 v[141:142], v[70:71], s[12:13], v[141:142]
	v_add_f64 v[60:61], v[62:63], -v[60:61]
	v_fma_f64 v[150:151], v[148:149], s[2:3], v[130:131]
	v_add_f64 v[128:129], v[128:129], v[62:63]
	v_add_f64 v[62:63], v[64:65], -v[58:59]
	v_fma_f64 v[148:149], v[148:149], s[14:15], v[76:77]
	v_add_f64 v[76:77], v[116:117], v[124:125]
	v_fma_f64 v[156:157], v[66:67], s[14:15], v[68:69]
	v_fma_f64 v[68:69], v[66:67], s[12:13], v[78:79]
	v_add_f64 v[144:145], v[144:145], v[146:147]
	v_add_f64 v[152:153], v[128:129], v[64:65]
	v_fma_f64 v[64:65], v[66:67], s[4:5], v[78:79]
	v_fma_f64 v[66:67], v[66:67], s[2:3], v[141:142]
	v_add_f64 v[62:63], v[60:61], v[62:63]
	ds_read_b128 v[128:131], v143 offset:1248
	v_fma_f64 v[60:61], v[139:140], s[16:17], v[148:149]
	v_add_f64 v[148:149], v[120:121], -v[118:119]
	v_fma_f64 v[141:142], v[70:71], s[14:15], v[68:69]
	v_fma_f64 v[68:69], v[132:133], s[16:17], v[82:83]
	v_add_f64 v[82:83], v[122:123], -v[116:117]
	v_add_f64 v[78:79], v[152:153], v[58:59]
	v_fma_f64 v[146:147], v[70:71], s[2:3], v[64:65]
	s_waitcnt lgkmcnt(0)
	v_fma_f64 v[158:159], v[76:77], -0.5, v[128:129]
	v_add_f64 v[76:77], v[80:81], v[56:57]
	v_fma_f64 v[56:57], v[132:133], s[16:17], v[134:135]
	v_fma_f64 v[70:71], v[144:145], s[16:17], v[156:157]
	;; [unrolled: 1-line block ×3, first 2 shown]
	v_add_f64 v[132:133], v[126:127], -v[124:125]
	v_add_f64 v[144:145], v[124:125], -v[126:127]
	;; [unrolled: 1-line block ×3, first 2 shown]
	v_fma_f64 v[64:65], v[139:140], s[16:17], v[150:151]
	v_fma_f64 v[66:67], v[62:63], s[16:17], v[141:142]
	v_add_f64 v[141:142], v[116:117], -v[122:123]
	v_fma_f64 v[62:63], v[62:63], s[16:17], v[146:147]
	v_fma_f64 v[80:81], v[160:161], s[12:13], v[158:159]
	v_fma_f64 v[146:147], v[162:163], -0.5, v[128:129]
	v_fma_f64 v[139:140], v[160:161], s[4:5], v[158:159]
	v_add_f64 v[158:159], v[96:97], -v[108:109]
	v_add_f64 v[132:133], v[82:83], v[132:133]
	v_add_f64 v[82:83], v[128:129], v[122:123]
	v_add_f64 v[122:123], v[122:123], -v[126:127]
	v_add_f64 v[141:142], v[141:142], v[144:145]
	v_add_f64 v[144:145], v[130:131], v[84:85]
	v_fma_f64 v[128:129], v[134:135], s[2:3], v[80:81]
	v_fma_f64 v[80:81], v[134:135], s[4:5], v[146:147]
	;; [unrolled: 1-line block ×4, first 2 shown]
	v_add_f64 v[82:83], v[82:83], v[116:117]
	v_add_f64 v[116:117], v[116:117], -v[124:125]
	v_add_f64 v[144:145], v[144:145], v[86:87]
	v_fma_f64 v[146:147], v[160:161], s[2:3], v[80:81]
	v_fma_f64 v[134:135], v[160:161], s[14:15], v[134:135]
	v_add_f64 v[160:161], v[98:99], v[112:113]
	v_add_f64 v[82:83], v[82:83], v[124:125]
	;; [unrolled: 1-line block ×7, first 2 shown]
	v_fma_f64 v[126:127], v[126:127], -0.5, v[130:131]
	v_fma_f64 v[144:145], v[144:145], -0.5, v[130:131]
	v_add_f64 v[130:131], v[84:85], -v[86:87]
	v_add_f64 v[84:85], v[86:87], -v[84:85]
	;; [unrolled: 1-line block ×3, first 2 shown]
	v_fma_f64 v[120:121], v[116:117], s[4:5], v[126:127]
	v_fma_f64 v[124:125], v[122:123], s[4:5], v[144:145]
	;; [unrolled: 1-line block ×3, first 2 shown]
	v_add_f64 v[130:131], v[130:131], v[148:149]
	v_fma_f64 v[148:149], v[116:117], s[12:13], v[126:127]
	v_add_f64 v[126:127], v[102:103], v[110:111]
	v_add_f64 v[150:151], v[84:85], v[86:87]
	v_fma_f64 v[84:85], v[132:133], s[16:17], v[128:129]
	v_fma_f64 v[128:129], v[141:142], s[16:17], v[134:135]
	v_add_f64 v[134:135], v[100:101], -v[104:105]
	v_fma_f64 v[152:153], v[122:123], s[2:3], v[120:121]
	v_fma_f64 v[120:121], v[132:133], s[16:17], v[139:140]
	v_add_f64 v[139:140], v[98:99], -v[102:103]
	v_fma_f64 v[124:125], v[116:117], s[14:15], v[124:125]
	v_fma_f64 v[144:145], v[116:117], s[2:3], v[144:145]
	ds_read_b128 v[116:119], v143 offset:1872
	v_fma_f64 v[148:149], v[122:123], s[14:15], v[148:149]
	s_waitcnt lgkmcnt(0)
	v_fma_f64 v[156:157], v[126:127], -0.5, v[116:117]
	v_fma_f64 v[86:87], v[130:131], s[16:17], v[124:125]
	v_fma_f64 v[122:123], v[130:131], s[16:17], v[144:145]
	v_fma_f64 v[124:125], v[141:142], s[16:17], v[146:147]
	v_add_f64 v[141:142], v[112:113], -v[110:111]
	v_fma_f64 v[146:147], v[160:161], -0.5, v[116:117]
	v_fma_f64 v[126:127], v[150:151], s[16:17], v[148:149]
	v_add_f64 v[148:149], v[96:97], v[108:109]
	v_add_f64 v[116:117], v[116:117], v[98:99]
	v_fma_f64 v[130:131], v[150:151], s[16:17], v[152:153]
	v_add_f64 v[150:151], v[102:103], -v[98:99]
	v_add_f64 v[152:153], v[110:111], -v[112:113]
	;; [unrolled: 1-line block ×4, first 2 shown]
	v_fma_f64 v[132:133], v[158:159], s[12:13], v[156:157]
	v_fma_f64 v[144:145], v[158:159], s[4:5], v[156:157]
	v_add_f64 v[156:157], v[92:93], v[94:95]
	v_add_f64 v[139:140], v[139:140], v[141:142]
	v_fma_f64 v[148:149], v[148:149], -0.5, v[118:119]
	v_add_f64 v[116:117], v[116:117], v[102:103]
	v_add_f64 v[102:103], v[102:103], -v[110:111]
	v_add_f64 v[150:151], v[150:151], v[152:153]
	v_fma_f64 v[132:133], v[134:135], s[2:3], v[132:133]
	v_fma_f64 v[141:142], v[134:135], s[14:15], v[144:145]
	;; [unrolled: 1-line block ×4, first 2 shown]
	v_add_f64 v[146:147], v[100:101], v[104:105]
	v_add_f64 v[116:117], v[116:117], v[110:111]
	v_add_f64 v[110:111], v[96:97], -v[100:101]
	v_fma_f64 v[144:145], v[158:159], s[2:3], v[144:145]
	v_fma_f64 v[134:135], v[158:159], s[14:15], v[134:135]
	v_fma_f64 v[146:147], v[146:147], -0.5, v[118:119]
	v_add_f64 v[118:119], v[118:119], v[96:97]
	v_add_f64 v[158:159], v[92:93], -v[34:35]
	v_add_f64 v[116:117], v[116:117], v[112:113]
	v_add_f64 v[112:113], v[108:109], -v[104:105]
	;; [unrolled: 2-line block ×3, first 2 shown]
	v_fma_f64 v[96:97], v[98:99], s[4:5], v[146:147]
	v_add_f64 v[158:159], v[158:159], v[160:161]
	v_add_f64 v[110:111], v[110:111], v[112:113]
	v_fma_f64 v[112:113], v[98:99], s[12:13], v[146:147]
	v_fma_f64 v[146:147], v[102:103], s[4:5], v[148:149]
	v_add_f64 v[118:119], v[118:119], v[104:105]
	v_add_f64 v[104:105], v[104:105], -v[108:109]
	v_fma_f64 v[112:113], v[102:103], s[2:3], v[112:113]
	v_fma_f64 v[146:147], v[98:99], s[2:3], v[146:147]
	v_add_f64 v[118:119], v[118:119], v[108:109]
	v_fma_f64 v[108:109], v[102:103], s[12:13], v[148:149]
	v_fma_f64 v[148:149], v[102:103], s[14:15], v[96:97]
	v_add_f64 v[104:105], v[100:101], v[104:105]
	ds_read_b128 v[100:103], v143 offset:2496
	v_fma_f64 v[96:97], v[139:140], s[16:17], v[132:133]
	v_fma_f64 v[132:133], v[150:151], s[16:17], v[144:145]
	v_add_f64 v[144:145], v[114:115], -v[94:95]
	s_waitcnt lgkmcnt(0)
	s_barrier
	buffer_gl0_inv
	v_fma_f64 v[152:153], v[98:99], s[14:15], v[108:109]
	v_fma_f64 v[98:99], v[110:111], s[16:17], v[148:149]
	;; [unrolled: 1-line block ×6, first 2 shown]
	v_add_f64 v[112:113], v[34:35], -v[92:93]
	v_add_f64 v[146:147], v[32:33], -v[106:107]
	v_add_f64 v[148:149], v[34:35], v[114:115]
	v_add_f64 v[150:151], v[88:89], -v[90:91]
	v_fma_f64 v[134:135], v[104:105], s[16:17], v[152:153]
	v_fma_f64 v[104:105], v[156:157], -0.5, v[100:101]
	v_add_f64 v[156:157], v[32:33], v[106:107]
	v_add_f64 v[112:113], v[112:113], v[144:145]
	v_fma_f64 v[148:149], v[148:149], -0.5, v[100:101]
	v_add_f64 v[100:101], v[100:101], v[34:35]
	v_add_f64 v[34:35], v[34:35], -v[114:115]
	v_fma_f64 v[144:145], v[146:147], s[12:13], v[104:105]
	v_fma_f64 v[104:105], v[146:147], s[4:5], v[104:105]
	v_fma_f64 v[156:157], v[156:157], -0.5, v[102:103]
	v_fma_f64 v[152:153], v[150:151], s[4:5], v[148:149]
	v_fma_f64 v[148:149], v[150:151], s[12:13], v[148:149]
	v_add_f64 v[100:101], v[100:101], v[92:93]
	v_add_f64 v[92:93], v[92:93], -v[94:95]
	v_fma_f64 v[144:145], v[150:151], s[2:3], v[144:145]
	v_fma_f64 v[104:105], v[150:151], s[14:15], v[104:105]
	v_add_f64 v[150:151], v[88:89], v[90:91]
	v_fma_f64 v[152:153], v[146:147], s[2:3], v[152:153]
	v_fma_f64 v[146:147], v[146:147], s[14:15], v[148:149]
	v_add_f64 v[100:101], v[100:101], v[94:95]
	v_add_f64 v[94:95], v[32:33], -v[88:89]
	v_fma_f64 v[148:149], v[92:93], s[4:5], v[156:157]
	v_fma_f64 v[150:151], v[150:151], -0.5, v[102:103]
	v_add_f64 v[102:103], v[102:103], v[32:33]
	v_add_f64 v[32:33], v[88:89], -v[32:33]
	v_add_f64 v[100:101], v[100:101], v[114:115]
	v_add_f64 v[114:115], v[106:107], -v[90:91]
	v_fma_f64 v[148:149], v[34:35], s[2:3], v[148:149]
	v_add_f64 v[102:103], v[102:103], v[88:89]
	v_add_f64 v[88:89], v[90:91], -v[106:107]
	v_add_f64 v[94:95], v[94:95], v[114:115]
	v_fma_f64 v[114:115], v[92:93], s[12:13], v[156:157]
	v_add_f64 v[102:103], v[102:103], v[90:91]
	v_fma_f64 v[90:91], v[34:35], s[4:5], v[150:151]
	v_fma_f64 v[114:115], v[34:35], s[14:15], v[114:115]
	v_add_f64 v[102:103], v[102:103], v[106:107]
	v_fma_f64 v[106:107], v[34:35], s[12:13], v[150:151]
	v_add_f64 v[150:151], v[32:33], v[88:89]
	v_fma_f64 v[88:89], v[112:113], s[16:17], v[144:145]
	v_fma_f64 v[32:33], v[112:113], s[16:17], v[104:105]
	buffer_load_dword v112, off, s[48:51], 0 offset:292 ; 4-byte Folded Reload
	v_fma_f64 v[90:91], v[92:93], s[14:15], v[90:91]
	v_fma_f64 v[104:105], v[158:159], s[16:17], v[146:147]
	s_waitcnt vmcnt(0)
	ds_write_b128 v112, v[52:55]
	ds_write_b128 v112, v[48:51] offset:208
	ds_write_b128 v112, v[44:47] offset:416
	;; [unrolled: 1-line block ×4, first 2 shown]
	buffer_load_dword v36, off, s[48:51], 0 offset:356 ; 4-byte Folded Reload
	v_fma_f64 v[106:107], v[92:93], s[2:3], v[106:107]
	v_fma_f64 v[90:91], v[94:95], s[16:17], v[90:91]
	;; [unrolled: 1-line block ×3, first 2 shown]
	s_waitcnt vmcnt(0)
	ds_write_b128 v36, v[76:79]
	ds_write_b128 v36, v[68:71] offset:208
	ds_write_b128 v36, v[64:67] offset:416
	ds_write_b128 v36, v[60:63] offset:624
	ds_write_b128 v36, v[56:59] offset:832
	buffer_load_dword v36, off, s[48:51], 0 offset:304 ; 4-byte Folded Reload
	v_fma_f64 v[34:35], v[94:95], s[16:17], v[106:107]
	v_fma_f64 v[94:95], v[150:151], s[16:17], v[114:115]
	;; [unrolled: 1-line block ×3, first 2 shown]
	s_waitcnt vmcnt(0)
	ds_write_b128 v36, v[80:83]
	ds_write_b128 v36, v[84:87] offset:208
	ds_write_b128 v36, v[124:127] offset:416
	ds_write_b128 v36, v[128:131] offset:624
	ds_write_b128 v36, v[120:123] offset:832
	buffer_load_dword v36, off, s[48:51], 0 offset:300 ; 4-byte Folded Reload
	s_waitcnt vmcnt(0)
	ds_write_b128 v36, v[116:119]
	ds_write_b128 v36, v[96:99] offset:208
	ds_write_b128 v36, v[132:135] offset:416
	;; [unrolled: 1-line block ×4, first 2 shown]
	buffer_load_dword v36, off, s[48:51], 0 offset:296 ; 4-byte Folded Reload
	s_waitcnt vmcnt(0)
	ds_write_b128 v36, v[100:103]
	ds_write_b128 v36, v[88:91] offset:208
	ds_write_b128 v36, v[92:95] offset:416
	;; [unrolled: 1-line block ×4, first 2 shown]
	s_waitcnt lgkmcnt(0)
	s_barrier
	buffer_gl0_inv
	ds_read_b128 v[64:67], v143
	ds_read_b128 v[132:135], v143 offset:5200
	ds_read_b128 v[128:131], v143 offset:10400
	;; [unrolled: 1-line block ×23, first 2 shown]
	s_and_saveexec_b32 s1, s0
	s_cbranch_execz .LBB0_19
; %bb.18:
	ds_read_b128 v[32:35], v143 offset:4992
	ds_read_b128 v[72:75], v143 offset:10192
	ds_read_b128 v[139:142], v143 offset:15392
	s_waitcnt lgkmcnt(0)
	buffer_store_dword v139, off, s[48:51], 0 offset:12 ; 4-byte Folded Spill
	buffer_store_dword v140, off, s[48:51], 0 offset:16 ; 4-byte Folded Spill
	;; [unrolled: 1-line block ×4, first 2 shown]
.LBB0_19:
	s_or_b32 exec_lo, exec_lo, s1
	s_clause 0x3
	buffer_load_dword v144, off, s[48:51], 0 offset:536
	buffer_load_dword v145, off, s[48:51], 0 offset:540
	;; [unrolled: 1-line block ×4, first 2 shown]
	s_mov_b32 s2, 0xe8584caa
	s_mov_b32 s3, 0xbfebb67a
	;; [unrolled: 1-line block ×4, first 2 shown]
	s_waitcnt vmcnt(0) lgkmcnt(0)
	s_waitcnt_vscnt null, 0x0
	s_barrier
	buffer_gl0_inv
	v_mul_f64 v[139:140], v[146:147], v[134:135]
	v_fma_f64 v[139:140], v[144:145], v[132:133], v[139:140]
	v_mul_f64 v[132:133], v[146:147], v[132:133]
	v_fma_f64 v[132:133], v[144:145], v[134:135], -v[132:133]
	v_mul_f64 v[134:135], v[238:239], v[130:131]
	v_fma_f64 v[134:135], v[236:237], v[128:129], v[134:135]
	v_mul_f64 v[128:129], v[238:239], v[128:129]
	v_fma_f64 v[128:129], v[236:237], v[130:131], -v[128:129]
	;; [unrolled: 4-line block ×3, first 2 shown]
	v_mul_f64 v[126:127], v[10:11], v[122:123]
	v_mul_f64 v[10:11], v[10:11], v[120:121]
	v_fma_f64 v[126:127], v[8:9], v[120:121], v[126:127]
	v_fma_f64 v[120:121], v[8:9], v[122:123], -v[10:11]
	v_mul_f64 v[8:9], v[234:235], v[118:119]
	v_fma_f64 v[122:123], v[232:233], v[116:117], v[8:9]
	v_mul_f64 v[8:9], v[234:235], v[116:117]
	v_fma_f64 v[116:117], v[232:233], v[118:119], -v[8:9]
	v_mul_f64 v[8:9], v[230:231], v[114:115]
	v_fma_f64 v[118:119], v[228:229], v[112:113], v[8:9]
	v_mul_f64 v[8:9], v[230:231], v[112:113]
	;; [unrolled: 4-line block ×4, first 2 shown]
	v_fma_f64 v[104:105], v[248:249], v[106:107], -v[8:9]
	v_mul_f64 v[8:9], v[6:7], v[102:103]
	v_mul_f64 v[6:7], v[6:7], v[100:101]
	v_fma_f64 v[106:107], v[4:5], v[100:101], v[8:9]
	v_fma_f64 v[100:101], v[4:5], v[102:103], -v[6:7]
	v_mul_f64 v[4:5], v[2:3], v[98:99]
	v_mul_f64 v[2:3], v[2:3], v[96:97]
	v_add_f64 v[6:7], v[132:133], v[128:129]
	v_add_f64 v[8:9], v[130:131], v[126:127]
	v_fma_f64 v[102:103], v[0:1], v[96:97], v[4:5]
	v_fma_f64 v[96:97], v[0:1], v[98:99], -v[2:3]
	v_mul_f64 v[0:1], v[14:15], v[94:95]
	v_mul_f64 v[2:3], v[30:31], v[76:77]
	v_add_f64 v[4:5], v[139:140], v[134:135]
	v_fma_f64 v[98:99], v[12:13], v[92:93], v[0:1]
	v_mul_f64 v[0:1], v[14:15], v[92:93]
	v_fma_f64 v[146:147], v[28:29], v[78:79], -v[2:3]
	v_mul_f64 v[2:3], v[242:243], v[68:69]
	v_fma_f64 v[10:11], v[4:5], -0.5, v[64:65]
	v_add_f64 v[4:5], v[124:125], v[120:121]
	v_add_f64 v[14:15], v[139:140], -v[134:135]
	v_fma_f64 v[92:93], v[12:13], v[94:95], -v[0:1]
	v_mul_f64 v[0:1], v[18:19], v[90:91]
	v_fma_f64 v[150:151], v[240:241], v[70:71], -v[2:3]
	v_add_f64 v[2:3], v[66:67], v[132:133]
	v_add_f64 v[12:13], v[132:133], -v[128:129]
	v_fma_f64 v[94:95], v[16:17], v[88:89], v[0:1]
	v_mul_f64 v[0:1], v[18:19], v[88:89]
	v_add_f64 v[2:3], v[2:3], v[128:129]
	v_add_f64 v[18:19], v[60:61], v[130:131]
	v_fma_f64 v[88:89], v[16:17], v[90:91], -v[0:1]
	v_mul_f64 v[0:1], v[26:27], v[86:87]
	v_fma_f64 v[16:17], v[6:7], -0.5, v[66:67]
	v_add_f64 v[66:67], v[56:57], v[122:123]
	v_fma_f64 v[90:91], v[24:25], v[84:85], v[0:1]
	v_mul_f64 v[0:1], v[26:27], v[84:85]
	v_fma_f64 v[6:7], v[14:15], s[4:5], v[16:17]
	v_add_f64 v[26:27], v[116:117], v[112:113]
	v_fma_f64 v[84:85], v[24:25], v[86:87], -v[0:1]
	v_mul_f64 v[0:1], v[22:23], v[82:83]
	v_add_f64 v[24:25], v[124:125], -v[120:121]
	v_fma_f64 v[86:87], v[20:21], v[80:81], v[0:1]
	v_mul_f64 v[0:1], v[22:23], v[80:81]
	v_add_f64 v[22:23], v[122:123], v[118:119]
	v_fma_f64 v[141:142], v[20:21], v[82:83], -v[0:1]
	v_mul_f64 v[0:1], v[30:31], v[78:79]
	v_add_f64 v[20:21], v[62:63], v[124:125]
	v_add_f64 v[30:31], v[130:131], -v[126:127]
	v_fma_f64 v[56:57], v[22:23], -0.5, v[56:57]
	v_add_f64 v[82:83], v[54:55], v[108:109]
	v_add_f64 v[78:79], v[106:107], v[102:103]
	v_fma_f64 v[144:145], v[28:29], v[76:77], v[0:1]
	v_mul_f64 v[0:1], v[242:243], v[70:71]
	v_fma_f64 v[28:29], v[8:9], -0.5, v[60:61]
	v_fma_f64 v[60:61], v[4:5], -0.5, v[62:63]
	v_fma_f64 v[4:5], v[12:13], s[2:3], v[10:11]
	v_fma_f64 v[8:9], v[12:13], s[4:5], v[10:11]
	;; [unrolled: 1-line block ×3, first 2 shown]
	v_add_f64 v[70:71], v[116:117], -v[112:113]
	v_add_f64 v[76:77], v[122:123], -v[118:119]
	v_add_f64 v[62:63], v[114:115], v[110:111]
	v_add_f64 v[12:13], v[18:19], v[126:127]
	v_add_f64 v[14:15], v[20:21], v[120:121]
	v_fma_f64 v[148:149], v[240:241], v[68:69], v[0:1]
	v_add_f64 v[0:1], v[64:65], v[139:140]
	v_add_f64 v[68:69], v[58:59], v[116:117]
	v_fma_f64 v[58:59], v[26:27], -0.5, v[58:59]
	v_add_f64 v[64:65], v[108:109], v[104:105]
	v_fma_f64 v[16:17], v[24:25], s[2:3], v[28:29]
	v_fma_f64 v[18:19], v[30:31], s[4:5], v[60:61]
	;; [unrolled: 1-line block ×4, first 2 shown]
	v_add_f64 v[24:25], v[66:67], v[118:119]
	v_fma_f64 v[28:29], v[70:71], s[2:3], v[56:57]
	v_add_f64 v[60:61], v[52:53], v[114:115]
	v_fma_f64 v[62:63], v[62:63], -0.5, v[52:53]
	v_fma_f64 v[52:53], v[70:71], s[4:5], v[56:57]
	v_add_f64 v[108:109], v[108:109], -v[104:105]
	v_add_f64 v[114:115], v[114:115], -v[110:111]
	v_add_f64 v[70:71], v[50:51], v[100:101]
	v_add_f64 v[116:117], v[38:39], v[146:147]
	v_add_f64 v[118:119], v[146:147], -v[150:151]
	v_add_f64 v[120:121], v[144:145], -v[148:149]
	v_add_f64 v[0:1], v[0:1], v[134:135]
	ds_write_b128 v143, v[0:3]
	ds_write_b128 v143, v[4:7] offset:1040
	ds_write_b128 v143, v[8:11] offset:2080
	buffer_load_dword v0, off, s[48:51], 0 offset:652 ; 4-byte Folded Reload
	v_add_f64 v[26:27], v[68:69], v[112:113]
	v_fma_f64 v[30:31], v[76:77], s[4:5], v[58:59]
	v_fma_f64 v[80:81], v[64:65], -0.5, v[54:55]
	v_fma_f64 v[54:55], v[76:77], s[2:3], v[58:59]
	v_add_f64 v[64:65], v[100:101], v[96:97]
	v_add_f64 v[56:57], v[60:61], v[110:111]
	;; [unrolled: 1-line block ×3, first 2 shown]
	v_fma_f64 v[60:61], v[108:109], s[2:3], v[62:63]
	v_add_f64 v[68:69], v[48:49], v[106:107]
	v_fma_f64 v[48:49], v[78:79], -0.5, v[48:49]
	v_add_f64 v[78:79], v[100:101], -v[96:97]
	v_add_f64 v[100:101], v[106:107], -v[102:103]
	v_add_f64 v[70:71], v[70:71], v[96:97]
	v_add_f64 v[104:105], v[98:99], v[94:95]
	;; [unrolled: 1-line block ×4, first 2 shown]
	s_waitcnt vmcnt(0)
	ds_write_b128 v0, v[12:15]
	ds_write_b128 v0, v[16:19] offset:1040
	ds_write_b128 v0, v[20:23] offset:2080
	;; [unrolled: 1-line block ×5, first 2 shown]
	buffer_load_dword v0, off, s[48:51], 0 offset:688 ; 4-byte Folded Reload
	v_fma_f64 v[50:51], v[64:65], -0.5, v[50:51]
	v_fma_f64 v[64:65], v[108:109], s[4:5], v[62:63]
	v_fma_f64 v[62:63], v[114:115], s[4:5], v[80:81]
	v_fma_f64 v[66:67], v[114:115], s[2:3], v[80:81]
	v_add_f64 v[68:69], v[68:69], v[102:103]
	v_fma_f64 v[76:77], v[78:79], s[2:3], v[48:49]
	v_fma_f64 v[80:81], v[78:79], s[4:5], v[48:49]
	v_add_f64 v[108:109], v[90:91], v[86:87]
	v_add_f64 v[48:49], v[40:41], v[98:99]
	v_fma_f64 v[96:97], v[104:105], -0.5, v[40:41]
	v_add_f64 v[40:41], v[42:43], v[92:93]
	v_add_f64 v[102:103], v[44:45], v[90:91]
	;; [unrolled: 1-line block ×3, first 2 shown]
	s_waitcnt vmcnt(0)
	ds_write_b128 v0, v[56:59]
	ds_write_b128 v0, v[60:63] offset:1040
	ds_write_b128 v0, v[64:67] offset:2080
	buffer_load_dword v0, off, s[48:51], 0 offset:684 ; 4-byte Folded Reload
	v_fma_f64 v[78:79], v[100:101], s[4:5], v[50:51]
	v_fma_f64 v[82:83], v[100:101], s[2:3], v[50:51]
	v_fma_f64 v[100:101], v[106:107], -0.5, v[42:43]
	v_add_f64 v[42:43], v[144:145], v[148:149]
	v_fma_f64 v[104:105], v[108:109], -0.5, v[44:45]
	v_add_f64 v[44:45], v[146:147], v[150:151]
	v_add_f64 v[106:107], v[46:47], v[84:85]
	v_fma_f64 v[108:109], v[110:111], -0.5, v[46:47]
	v_add_f64 v[46:47], v[98:99], -v[94:95]
	v_add_f64 v[98:99], v[90:91], -v[86:87]
	v_add_nc_u32_e32 v50, 0x4e0, v155
	s_waitcnt vmcnt(0)
	ds_write_b128 v0, v[68:71] offset:6240
	ds_write_b128 v0, v[76:79] offset:7280
	;; [unrolled: 1-line block ×3, first 2 shown]
	buffer_load_dword v0, off, s[48:51], 0 offset:680 ; 4-byte Folded Reload
	v_fma_f64 v[110:111], v[42:43], -0.5, v[36:37]
	v_add_f64 v[42:43], v[92:93], -v[88:89]
	v_fma_f64 v[112:113], v[44:45], -0.5, v[38:39]
	v_add_f64 v[36:37], v[48:49], v[94:95]
	v_add_f64 v[38:39], v[40:41], v[88:89]
	v_add_f64 v[92:93], v[84:85], -v[141:142]
	v_add_f64 v[84:85], v[102:103], v[86:87]
	v_add_f64 v[86:87], v[106:107], v[141:142]
	v_fma_f64 v[90:91], v[98:99], s[4:5], v[108:109]
	v_fma_f64 v[94:95], v[98:99], s[2:3], v[108:109]
	v_add_f64 v[98:99], v[116:117], v[150:151]
	v_add_nc_u32_e32 v49, 0x750, v155
	v_add_nc_u32_e32 v48, 0x9c0, v155
	v_fma_f64 v[40:41], v[42:43], s[2:3], v[96:97]
	v_fma_f64 v[44:45], v[42:43], s[4:5], v[96:97]
	;; [unrolled: 1-line block ×6, first 2 shown]
	v_add_f64 v[96:97], v[114:115], v[148:149]
	v_fma_f64 v[100:101], v[118:119], s[2:3], v[110:111]
	v_fma_f64 v[102:103], v[120:121], s[4:5], v[112:113]
	;; [unrolled: 1-line block ×4, first 2 shown]
	s_waitcnt vmcnt(0)
	ds_write_b128 v0, v[36:39] offset:9360
	ds_write_b128 v0, v[40:43] offset:10400
	;; [unrolled: 1-line block ×3, first 2 shown]
	buffer_load_dword v0, off, s[48:51], 0 offset:676 ; 4-byte Folded Reload
	s_waitcnt vmcnt(0)
	ds_write_b128 v0, v[84:87]
	ds_write_b128 v0, v[88:91] offset:1040
	ds_write_b128 v0, v[92:95] offset:2080
	buffer_load_dword v0, off, s[48:51], 0 offset:656 ; 4-byte Folded Reload
	s_waitcnt vmcnt(0)
	ds_write_b128 v0, v[96:99] offset:12480
	ds_write_b128 v0, v[100:103] offset:13520
	;; [unrolled: 1-line block ×3, first 2 shown]
	s_and_saveexec_b32 s1, s0
	s_cbranch_execz .LBB0_21
; %bb.20:
	s_clause 0xb
	buffer_load_dword v8, off, s[48:51], 0 offset:904
	buffer_load_dword v9, off, s[48:51], 0 offset:908
	buffer_load_dword v10, off, s[48:51], 0 offset:912
	buffer_load_dword v11, off, s[48:51], 0 offset:916
	buffer_load_dword v12, off, s[48:51], 0 offset:920
	buffer_load_dword v13, off, s[48:51], 0 offset:924
	buffer_load_dword v14, off, s[48:51], 0 offset:928
	buffer_load_dword v15, off, s[48:51], 0 offset:932
	buffer_load_dword v16, off, s[48:51], 0 offset:12
	buffer_load_dword v17, off, s[48:51], 0 offset:16
	buffer_load_dword v18, off, s[48:51], 0 offset:20
	buffer_load_dword v19, off, s[48:51], 0 offset:24
	s_waitcnt vmcnt(8)
	v_mul_f64 v[0:1], v[10:11], v[72:73]
	s_waitcnt vmcnt(2)
	v_mul_f64 v[2:3], v[14:15], v[16:17]
	v_mul_f64 v[4:5], v[10:11], v[74:75]
	s_waitcnt vmcnt(0)
	v_mul_f64 v[6:7], v[14:15], v[18:19]
	v_fma_f64 v[0:1], v[8:9], v[74:75], -v[0:1]
	v_fma_f64 v[2:3], v[12:13], v[18:19], -v[2:3]
	v_fma_f64 v[4:5], v[8:9], v[72:73], v[4:5]
	v_fma_f64 v[6:7], v[12:13], v[16:17], v[6:7]
	v_add_f64 v[14:15], v[34:35], v[0:1]
	v_add_f64 v[8:9], v[0:1], v[2:3]
	v_add_f64 v[16:17], v[0:1], -v[2:3]
	v_add_f64 v[10:11], v[4:5], v[6:7]
	v_add_f64 v[12:13], v[4:5], -v[6:7]
	v_add_f64 v[4:5], v[32:33], v[4:5]
	v_add_f64 v[2:3], v[14:15], v[2:3]
	v_fma_f64 v[8:9], v[8:9], -0.5, v[34:35]
	v_fma_f64 v[18:19], v[10:11], -0.5, v[32:33]
	v_add_f64 v[0:1], v[4:5], v[6:7]
	v_fma_f64 v[6:7], v[12:13], s[2:3], v[8:9]
	v_fma_f64 v[10:11], v[12:13], s[4:5], v[8:9]
	s_clause 0x1
	buffer_load_dword v12, off, s[48:51], 0 offset:8
	buffer_load_dword v13, off, s[48:51], 0 offset:648
	v_fma_f64 v[8:9], v[16:17], s[2:3], v[18:19]
	v_fma_f64 v[4:5], v[16:17], s[4:5], v[18:19]
	s_waitcnt vmcnt(0)
	v_lshl_add_u32 v12, v13, 4, v12
	ds_write_b128 v12, v[0:3] offset:12480
	ds_write_b128 v12, v[8:11] offset:13520
	;; [unrolled: 1-line block ×3, first 2 shown]
.LBB0_21:
	s_or_b32 exec_lo, exec_lo, s1
	s_waitcnt lgkmcnt(0)
	s_barrier
	buffer_gl0_inv
	ds_read_b128 v[16:19], v143 offset:3120
	ds_read_b128 v[20:23], v143 offset:6240
	ds_read_b128 v[24:27], v143 offset:9360
	ds_read_b128 v[51:54], v143
	ds_read_b128 v[8:11], v143 offset:624
	ds_read_b128 v[28:31], v143 offset:6864
	;; [unrolled: 1-line block ×8, first 2 shown]
	s_clause 0x7
	buffer_load_dword v117, off, s[48:51], 0 offset:660
	buffer_load_dword v118, off, s[48:51], 0 offset:664
	;; [unrolled: 1-line block ×8, first 2 shown]
	ds_read_b128 v[59:62], v143 offset:9984
	s_mov_b32 s4, 0x134454ff
	s_mov_b32 s5, 0xbfee6f0e
	;; [unrolled: 1-line block ×10, first 2 shown]
	s_waitcnt vmcnt(4) lgkmcnt(12)
	v_mul_f64 v[91:92], v[119:120], v[18:19]
	s_waitcnt vmcnt(0) lgkmcnt(11)
	v_mul_f64 v[95:96], v[125:126], v[22:23]
	v_mul_f64 v[97:98], v[125:126], v[20:21]
	s_clause 0x3
	buffer_load_dword v125, off, s[48:51], 0 offset:772
	buffer_load_dword v126, off, s[48:51], 0 offset:776
	;; [unrolled: 1-line block ×4, first 2 shown]
	ds_read_b128 v[63:66], v143 offset:10608
	ds_read_b128 v[12:15], v143 offset:1248
	;; [unrolled: 1-line block ×7, first 2 shown]
	s_clause 0x3
	buffer_load_dword v150, off, s[48:51], 0 offset:756
	buffer_load_dword v151, off, s[48:51], 0 offset:760
	;; [unrolled: 1-line block ×4, first 2 shown]
	ds_read_b128 v[83:86], v143 offset:4992
	ds_read_b128 v[87:90], v143 offset:5616
	s_clause 0x3
	buffer_load_dword v144, off, s[48:51], 0 offset:724
	buffer_load_dword v145, off, s[48:51], 0 offset:728
	;; [unrolled: 1-line block ×4, first 2 shown]
	v_mul_f64 v[93:94], v[119:120], v[16:17]
	v_fma_f64 v[115:116], v[117:118], v[16:17], v[91:92]
	v_fma_f64 v[121:122], v[123:124], v[20:21], v[95:96]
	v_fma_f64 v[123:124], v[123:124], v[22:23], -v[97:98]
	v_fma_f64 v[117:118], v[117:118], v[18:19], -v[93:94]
	s_waitcnt vmcnt(8) lgkmcnt(19)
	v_mul_f64 v[99:100], v[127:128], v[26:27]
	v_mul_f64 v[101:102], v[127:128], v[24:25]
	s_waitcnt vmcnt(4) lgkmcnt(15)
	v_mul_f64 v[103:104], v[152:153], v[34:35]
	v_mul_f64 v[105:106], v[152:153], v[32:33]
	;; [unrolled: 3-line block ×3, first 2 shown]
	s_clause 0xf
	buffer_load_dword v146, off, s[48:51], 0 offset:740
	buffer_load_dword v147, off, s[48:51], 0 offset:744
	;; [unrolled: 1-line block ×16, first 2 shown]
	ds_read_b128 v[16:19], v143 offset:11232
	ds_read_b128 v[91:94], v143 offset:11856
	s_clause 0x7
	buffer_load_dword v162, off, s[48:51], 0 offset:868
	buffer_load_dword v163, off, s[48:51], 0 offset:872
	;; [unrolled: 1-line block ×8, first 2 shown]
	v_fma_f64 v[99:100], v[125:126], v[24:25], v[99:100]
	v_fma_f64 v[101:102], v[125:126], v[26:27], -v[101:102]
	v_fma_f64 v[103:104], v[150:151], v[32:33], v[103:104]
	v_fma_f64 v[105:106], v[150:151], v[34:35], -v[105:106]
	;; [unrolled: 2-line block ×3, first 2 shown]
	s_waitcnt vmcnt(20)
	v_mul_f64 v[111:112], v[148:149], v[30:31]
	v_mul_f64 v[113:114], v[148:149], v[28:29]
	s_waitcnt vmcnt(12)
	v_mul_f64 v[22:23], v[141:142], v[38:39]
	s_waitcnt vmcnt(8) lgkmcnt(14)
	v_mul_f64 v[26:27], v[154:155], v[46:47]
	v_mul_f64 v[125:126], v[154:155], v[44:45]
	s_clause 0x3
	buffer_load_dword v154, off, s[48:51], 0 offset:836
	buffer_load_dword v155, off, s[48:51], 0 offset:840
	;; [unrolled: 1-line block ×4, first 2 shown]
	ds_read_b128 v[95:98], v143 offset:14976
	s_clause 0x3
	buffer_load_dword v148, off, s[48:51], 0 offset:804
	buffer_load_dword v149, off, s[48:51], 0 offset:808
	;; [unrolled: 1-line block ×4, first 2 shown]
	v_mul_f64 v[24:25], v[141:142], v[36:37]
	s_waitcnt lgkmcnt(12)
	v_mul_f64 v[119:120], v[131:132], v[61:62]
	v_mul_f64 v[20:21], v[131:132], v[59:60]
	s_waitcnt vmcnt(12) lgkmcnt(8)
	v_mul_f64 v[127:128], v[164:165], v[69:70]
	v_mul_f64 v[32:33], v[164:165], v[67:68]
	s_waitcnt vmcnt(8)
	v_mul_f64 v[40:41], v[160:161], v[63:64]
	v_mul_f64 v[34:35], v[160:161], v[65:66]
	v_fma_f64 v[111:112], v[146:147], v[28:29], v[111:112]
	v_fma_f64 v[113:114], v[146:147], v[30:31], -v[113:114]
	v_fma_f64 v[131:132], v[139:140], v[36:37], v[22:23]
	v_add_f64 v[36:37], v[121:122], v[99:100]
	v_fma_f64 v[46:47], v[152:153], v[46:47], -v[125:126]
	v_fma_f64 v[133:134], v[139:140], v[38:39], -v[24:25]
	v_fma_f64 v[139:140], v[152:153], v[44:45], v[26:27]
	v_fma_f64 v[119:120], v[129:130], v[59:60], v[119:120]
	v_fma_f64 v[129:130], v[129:130], v[61:62], -v[20:21]
	s_waitcnt lgkmcnt(7)
	v_mul_f64 v[26:27], v[222:223], v[73:74]
	v_fma_f64 v[125:126], v[162:163], v[67:68], v[127:128]
	v_fma_f64 v[127:128], v[162:163], v[69:70], -v[32:33]
	v_mul_f64 v[32:33], v[222:223], v[71:72]
	s_waitcnt lgkmcnt(2)
	v_mul_f64 v[38:39], v[226:227], v[18:19]
	v_mul_f64 v[59:60], v[210:211], v[79:80]
	;; [unrolled: 1-line block ×3, first 2 shown]
	v_fma_f64 v[141:142], v[158:159], v[65:66], -v[40:41]
	v_mul_f64 v[65:66], v[206:207], v[57:58]
	v_fma_f64 v[69:70], v[158:159], v[63:64], v[34:35]
	v_mul_f64 v[34:35], v[226:227], v[16:17]
	v_mul_f64 v[44:45], v[210:211], v[81:82]
	;; [unrolled: 1-line block ×4, first 2 shown]
	v_fma_f64 v[40:41], v[220:221], v[71:72], v[26:27]
	v_add_f64 v[71:72], v[51:52], v[115:116]
	v_fma_f64 v[26:27], v[220:221], v[73:74], -v[32:33]
	s_waitcnt vmcnt(4)
	v_mul_f64 v[42:43], v[156:157], v[77:78]
	v_mul_f64 v[28:29], v[156:157], v[75:76]
	s_waitcnt vmcnt(0)
	v_mul_f64 v[30:31], v[150:151], v[85:86]
	v_mul_f64 v[20:21], v[150:151], v[83:84]
	v_fma_f64 v[150:151], v[204:205], v[55:56], v[65:66]
	v_add_f64 v[55:56], v[111:112], v[119:120]
	v_add_f64 v[65:66], v[115:116], -v[121:122]
	v_fma_f64 v[144:145], v[154:155], v[75:76], v[42:43]
	v_fma_f64 v[146:147], v[154:155], v[77:78], -v[28:29]
	s_clause 0x3
	buffer_load_dword v152, off, s[48:51], 0 offset:884
	buffer_load_dword v153, off, s[48:51], 0 offset:888
	;; [unrolled: 1-line block ×4, first 2 shown]
	v_fma_f64 v[24:25], v[148:149], v[83:84], v[30:31]
	v_add_f64 v[30:31], v[115:116], v[103:104]
	s_waitcnt lgkmcnt(1)
	v_mul_f64 v[75:76], v[214:215], v[93:94]
	v_mul_f64 v[77:78], v[214:215], v[91:92]
	v_fma_f64 v[22:23], v[148:149], v[85:86], -v[20:21]
	v_fma_f64 v[42:43], v[224:225], v[16:17], v[38:39]
	v_add_f64 v[148:149], v[123:124], v[101:102]
	v_fma_f64 v[16:17], v[208:209], v[81:82], -v[59:60]
	v_add_f64 v[59:60], v[117:118], v[105:106]
	v_fma_f64 v[83:84], v[36:37], -0.5, v[51:52]
	v_add_f64 v[85:86], v[117:118], -v[105:106]
	v_fma_f64 v[36:37], v[216:217], v[87:88], v[61:62]
	v_add_f64 v[61:62], v[123:124], -v[101:102]
	v_fma_f64 v[20:21], v[224:225], v[18:19], -v[34:35]
	v_fma_f64 v[18:19], v[208:209], v[79:80], v[44:45]
	v_fma_f64 v[44:45], v[204:205], v[57:58], -v[67:68]
	v_add_f64 v[57:58], v[71:72], v[121:122]
	v_add_f64 v[67:68], v[103:104], -v[99:100]
	v_add_f64 v[71:72], v[53:54], v[117:118]
	v_fma_f64 v[28:29], v[216:217], v[89:90], -v[63:64]
	v_add_f64 v[81:82], v[121:122], -v[115:116]
	v_add_f64 v[87:88], v[8:9], v[107:108]
	v_fma_f64 v[55:56], v[55:56], -0.5, v[8:9]
	v_fma_f64 v[51:52], v[30:31], -0.5, v[51:52]
	v_fma_f64 v[34:35], v[212:213], v[91:92], v[75:76]
	v_fma_f64 v[30:31], v[212:213], v[93:94], -v[77:78]
	v_add_f64 v[75:76], v[115:116], -v[103:104]
	v_add_f64 v[77:78], v[121:122], -v[99:100]
	;; [unrolled: 1-line block ×6, first 2 shown]
	v_fma_f64 v[63:64], v[85:86], s[4:5], v[83:84]
	v_add_f64 v[57:58], v[57:58], v[99:100]
	v_add_f64 v[65:66], v[65:66], v[67:68]
	;; [unrolled: 1-line block ×4, first 2 shown]
	v_add_f64 v[160:161], v[28:29], -v[44:45]
	v_fma_f64 v[79:80], v[61:62], s[12:13], v[51:52]
	v_fma_f64 v[51:52], v[61:62], s[4:5], v[51:52]
	;; [unrolled: 1-line block ×3, first 2 shown]
	v_fma_f64 v[67:68], v[67:68], -0.5, v[8:9]
	v_add_f64 v[71:72], v[71:72], v[101:102]
	s_waitcnt vmcnt(0) lgkmcnt(0)
	v_mul_f64 v[32:33], v[154:155], v[97:98]
	v_mul_f64 v[73:74], v[154:155], v[95:96]
	v_fma_f64 v[38:39], v[152:153], v[95:96], v[32:33]
	v_fma_f64 v[32:33], v[152:153], v[97:98], -v[73:74]
	v_fma_f64 v[73:74], v[148:149], -0.5, v[53:54]
	v_fma_f64 v[53:54], v[59:60], -0.5, v[53:54]
	v_fma_f64 v[59:60], v[85:86], s[12:13], v[83:84]
	v_add_f64 v[83:84], v[99:100], -v[103:104]
	v_add_f64 v[95:96], v[105:106], -v[101:102]
	;; [unrolled: 1-line block ×4, first 2 shown]
	v_fma_f64 v[123:124], v[89:90], s[12:13], v[55:56]
	v_add_f64 v[148:149], v[113:114], v[129:130]
	v_add_f64 v[152:153], v[24:25], v[18:19]
	v_add_f64 v[162:163], v[32:33], -v[30:31]
	v_fma_f64 v[91:92], v[75:76], s[12:13], v[73:74]
	v_fma_f64 v[73:74], v[75:76], s[4:5], v[73:74]
	;; [unrolled: 1-line block ×6, first 2 shown]
	v_add_f64 v[79:80], v[81:82], v[83:84]
	v_fma_f64 v[81:82], v[85:86], s[2:3], v[51:52]
	v_add_f64 v[83:84], v[87:88], v[111:112]
	v_fma_f64 v[85:86], v[89:90], s[4:5], v[55:56]
	v_add_f64 v[87:88], v[113:114], -v[129:130]
	v_add_f64 v[93:94], v[93:94], v[95:96]
	v_fma_f64 v[55:56], v[65:66], s[14:15], v[63:64]
	v_add_f64 v[51:52], v[57:58], v[103:104]
	v_add_f64 v[103:104], v[139:140], v[144:145]
	v_fma_f64 v[91:92], v[77:78], s[2:3], v[91:92]
	v_fma_f64 v[73:74], v[77:78], s[0:1], v[73:74]
	v_add_f64 v[77:78], v[109:110], v[133:134]
	v_fma_f64 v[95:96], v[75:76], s[2:3], v[97:98]
	v_add_f64 v[97:98], v[99:100], v[115:116]
	;; [unrolled: 2-line block ×3, first 2 shown]
	v_fma_f64 v[8:9], v[65:66], s[14:15], v[59:60]
	v_fma_f64 v[59:60], v[79:80], s[14:15], v[61:62]
	;; [unrolled: 1-line block ×3, first 2 shown]
	v_add_f64 v[79:80], v[125:126], v[69:70]
	v_add_f64 v[81:82], v[83:84], v[119:120]
	v_fma_f64 v[83:84], v[87:88], s[0:1], v[85:86]
	v_add_f64 v[85:86], v[117:118], v[121:122]
	v_fma_f64 v[101:102], v[87:88], s[2:3], v[123:124]
	v_fma_f64 v[117:118], v[148:149], -0.5, v[10:11]
	v_add_f64 v[121:122], v[107:108], -v[131:132]
	v_fma_f64 v[115:116], v[87:88], s[12:13], v[67:68]
	v_fma_f64 v[87:88], v[87:88], s[4:5], v[67:68]
	v_add_f64 v[53:54], v[71:72], v[105:106]
	v_add_f64 v[105:106], v[133:134], -v[129:130]
	v_add_f64 v[148:149], v[146:147], -v[141:142]
	v_fma_f64 v[57:58], v[93:94], s[14:15], v[91:92]
	v_add_f64 v[91:92], v[111:112], -v[119:120]
	v_fma_f64 v[77:78], v[77:78], -0.5, v[10:11]
	v_fma_f64 v[10:11], v[93:94], s[14:15], v[73:74]
	v_fma_f64 v[61:62], v[97:98], s[14:15], v[95:96]
	;; [unrolled: 1-line block ×3, first 2 shown]
	v_add_f64 v[73:74], v[111:112], -v[107:108]
	v_add_f64 v[75:76], v[127:128], v[141:142]
	v_add_f64 v[93:94], v[119:120], -v[131:132]
	v_add_f64 v[95:96], v[99:100], v[113:114]
	v_add_f64 v[97:98], v[12:13], v[139:140]
	v_fma_f64 v[79:80], v[79:80], -0.5, v[12:13]
	v_add_f64 v[99:100], v[46:47], -v[146:147]
	v_add_f64 v[67:68], v[81:82], v[131:132]
	v_fma_f64 v[71:72], v[85:86], s[14:15], v[83:84]
	v_add_f64 v[81:82], v[127:128], -v[141:142]
	v_fma_f64 v[83:84], v[103:104], -0.5, v[12:13]
	v_fma_f64 v[12:13], v[85:86], s[14:15], v[101:102]
	v_fma_f64 v[101:102], v[121:122], s[12:13], v[117:118]
	;; [unrolled: 1-line block ×4, first 2 shown]
	v_add_f64 v[103:104], v[109:110], -v[113:114]
	v_add_f64 v[109:110], v[113:114], -v[109:110]
	;; [unrolled: 1-line block ×3, first 2 shown]
	v_fma_f64 v[111:112], v[91:92], s[4:5], v[77:78]
	v_fma_f64 v[77:78], v[91:92], s[12:13], v[77:78]
	v_add_f64 v[115:116], v[14:15], v[46:47]
	v_add_f64 v[117:118], v[139:140], -v[144:145]
	v_fma_f64 v[87:88], v[89:90], s[2:3], v[87:88]
	v_fma_f64 v[75:76], v[75:76], -0.5, v[14:15]
	v_add_f64 v[73:74], v[73:74], v[93:94]
	v_add_f64 v[89:90], v[95:96], v[129:130]
	;; [unrolled: 1-line block ×4, first 2 shown]
	v_fma_f64 v[95:96], v[99:100], s[4:5], v[79:80]
	v_add_f64 v[97:98], v[139:140], -v[125:126]
	v_add_f64 v[119:120], v[144:145], -v[69:70]
	v_fma_f64 v[79:80], v[99:100], s[12:13], v[79:80]
	v_fma_f64 v[123:124], v[81:82], s[12:13], v[83:84]
	v_add_f64 v[131:132], v[125:126], -v[139:140]
	v_add_f64 v[139:140], v[69:70], -v[144:145]
	v_fma_f64 v[101:102], v[91:92], s[2:3], v[101:102]
	v_fma_f64 v[91:92], v[91:92], s[0:1], v[107:108]
	;; [unrolled: 1-line block ×3, first 2 shown]
	v_add_f64 v[107:108], v[40:41], v[42:43]
	v_add_f64 v[103:104], v[103:104], v[105:106]
	v_fma_f64 v[105:106], v[121:122], s[2:3], v[111:112]
	v_add_f64 v[109:110], v[109:110], v[113:114]
	v_fma_f64 v[111:112], v[121:122], s[0:1], v[77:78]
	v_add_f64 v[113:114], v[115:116], v[127:128]
	v_add_f64 v[121:122], v[125:126], -v[69:70]
	v_fma_f64 v[115:116], v[117:118], s[12:13], v[75:76]
	v_add_f64 v[125:126], v[46:47], -v[127:128]
	v_fma_f64 v[154:155], v[117:118], s[4:5], v[75:76]
	v_add_f64 v[93:94], v[93:94], v[69:70]
	v_fma_f64 v[129:130], v[129:130], -0.5, v[14:15]
	v_fma_f64 v[95:96], v[81:82], s[0:1], v[95:96]
	v_fma_f64 v[75:76], v[73:74], s[14:15], v[85:86]
	v_add_f64 v[97:98], v[97:98], v[119:120]
	v_fma_f64 v[119:120], v[81:82], s[2:3], v[79:80]
	v_fma_f64 v[123:124], v[99:100], s[0:1], v[123:124]
	v_add_f64 v[69:70], v[89:90], v[133:134]
	v_add_f64 v[131:132], v[131:132], v[139:140]
	;; [unrolled: 1-line block ×3, first 2 shown]
	v_fma_f64 v[79:80], v[73:74], s[14:15], v[87:88]
	v_fma_f64 v[85:86], v[99:100], s[2:3], v[83:84]
	v_fma_f64 v[99:100], v[107:108], -0.5, v[4:5]
	v_add_f64 v[107:108], v[22:23], -v[16:17]
	v_fma_f64 v[73:74], v[103:104], s[14:15], v[101:102]
	v_fma_f64 v[14:15], v[103:104], s[14:15], v[91:92]
	;; [unrolled: 1-line block ×3, first 2 shown]
	v_add_f64 v[101:102], v[113:114], v[141:142]
	v_fma_f64 v[81:82], v[109:110], s[14:15], v[111:112]
	v_fma_f64 v[103:104], v[121:122], s[2:3], v[115:116]
	v_add_f64 v[105:106], v[125:126], v[148:149]
	v_add_f64 v[46:47], v[127:128], -v[46:47]
	v_add_f64 v[83:84], v[93:94], v[144:145]
	v_fma_f64 v[93:94], v[121:122], s[0:1], v[154:155]
	v_fma_f64 v[109:110], v[121:122], s[4:5], v[129:130]
	v_add_f64 v[111:112], v[141:142], -v[146:147]
	v_fma_f64 v[87:88], v[97:98], s[14:15], v[95:96]
	v_fma_f64 v[91:92], v[97:98], s[14:15], v[119:120]
	v_add_f64 v[97:98], v[26:27], v[20:21]
	v_add_f64 v[125:126], v[22:23], v[16:17]
	v_add_f64 v[113:114], v[26:27], -v[20:21]
	v_fma_f64 v[115:116], v[152:153], -0.5, v[4:5]
	v_fma_f64 v[4:5], v[131:132], s[14:15], v[123:124]
	v_fma_f64 v[119:120], v[121:122], s[12:13], v[129:130]
	v_add_f64 v[121:122], v[89:90], v[40:41]
	v_fma_f64 v[123:124], v[107:108], s[4:5], v[99:100]
	v_fma_f64 v[99:100], v[107:108], s[12:13], v[99:100]
	;; [unrolled: 1-line block ×3, first 2 shown]
	v_add_f64 v[127:128], v[24:25], -v[40:41]
	v_add_f64 v[129:130], v[18:19], -v[42:43]
	v_add_f64 v[85:86], v[101:102], v[146:147]
	v_add_f64 v[101:102], v[150:151], v[34:35]
	v_fma_f64 v[89:90], v[105:106], s[14:15], v[103:104]
	v_add_f64 v[131:132], v[40:41], -v[24:25]
	v_add_f64 v[139:140], v[42:43], -v[18:19]
	v_fma_f64 v[93:94], v[105:106], s[14:15], v[93:94]
	v_fma_f64 v[105:106], v[117:118], s[2:3], v[109:110]
	v_add_f64 v[109:110], v[44:45], v[30:31]
	v_add_f64 v[133:134], v[36:37], v[38:39]
	;; [unrolled: 1-line block ×5, first 2 shown]
	v_fma_f64 v[97:98], v[97:98], -0.5, v[6:7]
	v_add_f64 v[24:25], v[24:25], -v[18:19]
	v_add_f64 v[40:41], v[40:41], -v[42:43]
	v_fma_f64 v[6:7], v[125:126], -0.5, v[6:7]
	v_fma_f64 v[103:104], v[113:114], s[12:13], v[115:116]
	v_fma_f64 v[117:118], v[117:118], s[0:1], v[119:120]
	v_add_f64 v[119:120], v[121:122], v[42:43]
	v_fma_f64 v[42:43], v[113:114], s[0:1], v[123:124]
	v_add_f64 v[123:124], v[0:1], v[36:37]
	v_fma_f64 v[99:100], v[113:114], s[2:3], v[99:100]
	v_fma_f64 v[113:114], v[113:114], s[4:5], v[115:116]
	v_add_f64 v[115:116], v[2:3], v[28:29]
	v_add_f64 v[121:122], v[127:128], v[129:130]
	v_fma_f64 v[101:102], v[101:102], -0.5, v[0:1]
	v_add_f64 v[125:126], v[28:29], -v[32:33]
	v_add_f64 v[129:130], v[131:132], v[139:140]
	v_add_f64 v[131:132], v[36:37], -v[38:39]
	v_fma_f64 v[109:110], v[109:110], -0.5, v[2:3]
	v_add_f64 v[127:128], v[44:45], -v[30:31]
	v_fma_f64 v[0:1], v[133:134], -0.5, v[0:1]
	v_add_f64 v[133:134], v[141:142], v[26:27]
	v_add_f64 v[141:142], v[150:151], -v[34:35]
	v_fma_f64 v[2:3], v[111:112], -0.5, v[2:3]
	v_fma_f64 v[139:140], v[24:25], s[12:13], v[97:98]
	v_add_f64 v[111:112], v[22:23], -v[26:27]
	v_add_f64 v[144:145], v[16:17], -v[20:21]
	v_fma_f64 v[146:147], v[40:41], s[4:5], v[6:7]
	v_add_f64 v[22:23], v[26:27], -v[22:23]
	v_add_f64 v[26:27], v[20:21], -v[16:17]
	v_fma_f64 v[6:7], v[40:41], s[12:13], v[6:7]
	v_fma_f64 v[97:98], v[24:25], s[4:5], v[97:98]
	v_add_f64 v[123:124], v[123:124], v[150:151]
	v_add_f64 v[152:153], v[36:37], -v[150:151]
	v_add_f64 v[115:116], v[115:116], v[44:45]
	v_add_f64 v[154:155], v[38:39], -v[34:35]
	v_add_f64 v[36:37], v[150:151], -v[36:37]
	v_fma_f64 v[148:149], v[125:126], s[4:5], v[101:102]
	v_fma_f64 v[101:102], v[125:126], s[12:13], v[101:102]
	v_add_f64 v[150:151], v[34:35], -v[38:39]
	v_fma_f64 v[158:159], v[131:132], s[12:13], v[109:110]
	v_fma_f64 v[109:110], v[131:132], s[4:5], v[109:110]
	;; [unrolled: 1-line block ×4, first 2 shown]
	v_add_f64 v[28:29], v[44:45], -v[28:29]
	v_fma_f64 v[164:165], v[141:142], s[4:5], v[2:3]
	v_add_f64 v[44:45], v[30:31], -v[32:33]
	v_fma_f64 v[2:3], v[141:142], s[12:13], v[2:3]
	v_add_f64 v[20:21], v[133:134], v[20:21]
	v_fma_f64 v[103:104], v[107:108], s[0:1], v[103:104]
	v_fma_f64 v[107:108], v[107:108], s[2:3], v[113:114]
	;; [unrolled: 1-line block ×3, first 2 shown]
	v_add_f64 v[111:112], v[111:112], v[144:145]
	v_fma_f64 v[133:134], v[24:25], s[2:3], v[146:147]
	v_add_f64 v[139:140], v[22:23], v[26:27]
	v_fma_f64 v[144:145], v[24:25], s[0:1], v[6:7]
	v_fma_f64 v[40:41], v[40:41], s[0:1], v[97:98]
	v_add_f64 v[123:124], v[123:124], v[34:35]
	v_add_f64 v[115:116], v[115:116], v[30:31]
	v_fma_f64 v[146:147], v[127:128], s[0:1], v[148:149]
	v_add_f64 v[148:149], v[152:153], v[154:155]
	v_add_f64 v[154:155], v[160:161], v[162:163]
	v_fma_f64 v[152:153], v[141:142], s[2:3], v[158:159]
	v_fma_f64 v[101:102], v[127:128], s[2:3], v[101:102]
	v_fma_f64 v[127:128], v[125:126], s[0:1], v[156:157]
	v_add_f64 v[150:151], v[36:37], v[150:151]
	v_fma_f64 v[125:126], v[125:126], s[2:3], v[0:1]
	v_fma_f64 v[109:110], v[141:142], s[0:1], v[109:110]
	v_fma_f64 v[141:142], v[131:132], s[2:3], v[164:165]
	;; [unrolled: 4-line block ×3, first 2 shown]
	v_add_f64 v[0:1], v[119:120], v[18:19]
	v_add_f64 v[2:3], v[20:21], v[16:17]
	v_fma_f64 v[18:19], v[121:122], s[14:15], v[42:43]
	v_fma_f64 v[20:21], v[111:112], s[14:15], v[113:114]
	;; [unrolled: 1-line block ×8, first 2 shown]
	v_add_f64 v[30:31], v[123:124], v[38:39]
	v_add_f64 v[32:33], v[115:116], v[32:33]
	v_fma_f64 v[38:39], v[148:149], s[14:15], v[146:147]
	v_fma_f64 v[40:41], v[154:155], s[14:15], v[152:153]
	;; [unrolled: 1-line block ×8, first 2 shown]
	ds_write_b128 v143, v[51:54]
	ds_write_b128 v143, v[55:58] offset:3120
	ds_write_b128 v143, v[59:62] offset:6240
	;; [unrolled: 1-line block ×24, first 2 shown]
	s_waitcnt lgkmcnt(0)
	s_barrier
	buffer_gl0_inv
	ds_read_b128 v[0:3], v143
	ds_read_b128 v[4:7], v143 offset:1200
	ds_read_b128 v[8:11], v143 offset:2400
	s_clause 0x5
	buffer_load_dword v33, off, s[48:51], 0 offset:84
	buffer_load_dword v34, off, s[48:51], 0 offset:88
	;; [unrolled: 1-line block ×6, first 2 shown]
	s_mov_b32 s2, 0xaa677344
	s_mov_b32 s3, 0x3f50cdd9
	s_mul_hi_u32 s1, s8, 0x4b
	s_mul_i32 s4, s8, 0x4b
	s_waitcnt vmcnt(2) lgkmcnt(2)
	v_mul_f64 v[16:17], v[35:36], v[2:3]
	v_mul_f64 v[18:19], v[35:36], v[0:1]
	s_clause 0x3
	buffer_load_dword v35, off, s[48:51], 0 offset:100
	buffer_load_dword v36, off, s[48:51], 0 offset:104
	;; [unrolled: 1-line block ×4, first 2 shown]
	s_waitcnt vmcnt(5)
	v_mov_b32_e32 v30, v12
	s_waitcnt vmcnt(4)
	ds_read_b128 v[12:15], v143 offset:3600
	v_mad_u64_u32 v[20:21], null, s10, v30, 0
	v_fma_f64 v[16:17], v[33:34], v[0:1], v[16:17]
	v_fma_f64 v[18:19], v[33:34], v[2:3], -v[18:19]
	s_waitcnt vmcnt(0) lgkmcnt(2)
	v_mul_f64 v[22:23], v[37:38], v[6:7]
	v_mul_f64 v[24:25], v[37:38], v[4:5]
	s_clause 0x3
	buffer_load_dword v37, off, s[48:51], 0 offset:276
	buffer_load_dword v38, off, s[48:51], 0 offset:280
	;; [unrolled: 1-line block ×4, first 2 shown]
	ds_read_b128 v[0:3], v143 offset:4800
	s_clause 0x3
	buffer_load_dword v45, off, s[48:51], 0 offset:260
	buffer_load_dword v46, off, s[48:51], 0 offset:264
	;; [unrolled: 1-line block ×4, first 2 shown]
	v_mad_u64_u32 v[30:31], null, s11, v30, v[21:22]
	v_mad_u64_u32 v[31:32], null, s8, v138, 0
	v_fma_f64 v[22:23], v[35:36], v[4:5], v[22:23]
	v_fma_f64 v[24:25], v[35:36], v[6:7], -v[24:25]
	v_mul_f64 v[4:5], v[16:17], s[2:3]
	v_mul_f64 v[6:7], v[18:19], s[2:3]
	v_mov_b32_e32 v21, v30
	v_mov_b32_e32 v30, v32
	v_lshlrev_b64 v[20:21], 4, v[20:21]
	v_mad_u64_u32 v[32:33], null, s9, v138, v[30:31]
	v_lshlrev_b64 v[30:31], 4, v[31:32]
	v_mul_f64 v[16:17], v[22:23], s[2:3]
	v_mul_f64 v[18:19], v[24:25], s[2:3]
	s_waitcnt vmcnt(4) lgkmcnt(2)
	v_mul_f64 v[26:27], v[39:40], v[10:11]
	v_mul_f64 v[28:29], v[39:40], v[8:9]
	s_waitcnt vmcnt(0) lgkmcnt(1)
	v_mul_f64 v[33:34], v[47:48], v[14:15]
	v_mul_f64 v[35:36], v[47:48], v[12:13]
	v_add_co_u32 v39, s0, s6, v20
	v_add_co_ci_u32_e64 v40, s0, s7, v21, s0
	s_mul_i32 s0, s9, 0x4b
	s_add_i32 s5, s1, s0
	v_add_co_u32 v30, s0, v39, v30
	v_add_co_ci_u32_e64 v31, s0, v40, v31, s0
	s_lshl_b64 s[4:5], s[4:5], 4
	v_add_co_u32 v32, s0, v30, s4
	v_fma_f64 v[26:27], v[37:38], v[8:9], v[26:27]
	v_fma_f64 v[28:29], v[37:38], v[10:11], -v[28:29]
	ds_read_b128 v[8:11], v143 offset:6000
	s_clause 0x3
	buffer_load_dword v41, off, s[48:51], 0 offset:244
	buffer_load_dword v42, off, s[48:51], 0 offset:248
	;; [unrolled: 1-line block ×4, first 2 shown]
	v_mul_f64 v[20:21], v[26:27], s[2:3]
	v_mul_f64 v[22:23], v[28:29], s[2:3]
	v_fma_f64 v[26:27], v[45:46], v[12:13], v[33:34]
	v_add_co_ci_u32_e64 v33, s0, s5, v31, s0
	v_fma_f64 v[28:29], v[45:46], v[14:15], -v[35:36]
	v_add_co_u32 v36, s0, v32, s4
	ds_read_b128 v[12:15], v143 offset:7200
	s_clause 0x3
	buffer_load_dword v52, off, s[48:51], 0 offset:164
	buffer_load_dword v53, off, s[48:51], 0 offset:168
	;; [unrolled: 1-line block ×4, first 2 shown]
	global_store_dwordx4 v[30:31], v[4:7], off
	v_mul_f64 v[4:5], v[26:27], s[2:3]
	v_mul_f64 v[6:7], v[28:29], s[2:3]
	s_waitcnt vmcnt(4) lgkmcnt(2)
	v_mul_f64 v[37:38], v[43:44], v[2:3]
	v_mul_f64 v[24:25], v[43:44], v[0:1]
	v_fma_f64 v[34:35], v[41:42], v[0:1], v[37:38]
	v_add_co_ci_u32_e64 v37, s0, s5, v33, s0
	v_fma_f64 v[40:41], v[41:42], v[2:3], -v[24:25]
	ds_read_b128 v[0:3], v143 offset:8400
	global_store_dwordx4 v[32:33], v[16:19], off
	global_store_dwordx4 v[36:37], v[20:23], off
	s_clause 0x3
	buffer_load_dword v56, off, s[48:51], 0 offset:180
	buffer_load_dword v57, off, s[48:51], 0 offset:184
	;; [unrolled: 1-line block ×4, first 2 shown]
	v_add_co_u32 v50, s0, v36, s4
	ds_read_b128 v[16:19], v143 offset:9600
	ds_read_b128 v[20:23], v143 offset:10800
	;; [unrolled: 1-line block ×3, first 2 shown]
	v_add_co_ci_u32_e64 v51, s0, s5, v37, s0
	ds_read_b128 v[28:31], v143 offset:13200
	ds_read_b128 v[36:39], v143 offset:14400
	s_clause 0xf
	buffer_load_dword v76, off, s[48:51], 0 offset:148
	buffer_load_dword v77, off, s[48:51], 0 offset:152
	;; [unrolled: 1-line block ×16, first 2 shown]
	s_waitcnt vmcnt(20) lgkmcnt(7)
	v_mul_f64 v[42:43], v[54:55], v[10:11]
	v_mul_f64 v[44:45], v[54:55], v[8:9]
	;; [unrolled: 1-line block ×4, first 2 shown]
	v_fma_f64 v[8:9], v[52:53], v[8:9], v[42:43]
	v_fma_f64 v[10:11], v[52:53], v[10:11], -v[44:45]
	v_add_co_u32 v44, s0, v50, s4
	v_add_co_ci_u32_e64 v45, s0, s5, v51, s0
	s_waitcnt vmcnt(16) lgkmcnt(6)
	v_mul_f64 v[46:47], v[58:59], v[14:15]
	v_mul_f64 v[48:49], v[58:59], v[12:13]
	s_waitcnt vmcnt(12) lgkmcnt(5)
	v_mul_f64 v[40:41], v[78:79], v[2:3]
	v_mul_f64 v[42:43], v[78:79], v[0:1]
	s_clause 0x3
	buffer_load_dword v78, off, s[48:51], 0 offset:196
	buffer_load_dword v79, off, s[48:51], 0 offset:200
	;; [unrolled: 1-line block ×4, first 2 shown]
	s_waitcnt vmcnt(4) lgkmcnt(2)
	v_mul_f64 v[58:59], v[84:85], v[24:25]
	v_mul_f64 v[52:53], v[74:75], v[18:19]
	;; [unrolled: 1-line block ×3, first 2 shown]
	v_fma_f64 v[12:13], v[56:57], v[12:13], v[46:47]
	v_fma_f64 v[14:15], v[56:57], v[14:15], -v[48:49]
	v_mul_f64 v[56:57], v[84:85], v[26:27]
	s_clause 0x3
	buffer_load_dword v84, off, s[48:51], 0 offset:228
	buffer_load_dword v85, off, s[48:51], 0 offset:232
	;; [unrolled: 1-line block ×4, first 2 shown]
	v_mul_f64 v[46:47], v[70:71], v[22:23]
	v_mul_f64 v[48:49], v[70:71], v[20:21]
	global_store_dwordx4 v[50:51], v[4:7], off
	global_store_dwordx4 v[44:45], v[32:35], off
	v_mul_f64 v[4:5], v[8:9], s[2:3]
	v_mul_f64 v[6:7], v[10:11], s[2:3]
	v_fma_f64 v[8:9], v[76:77], v[0:1], v[40:41]
	v_fma_f64 v[10:11], v[76:77], v[2:3], -v[42:43]
	v_add_co_u32 v32, s0, v44, s4
	v_fma_f64 v[16:17], v[72:73], v[16:17], v[52:53]
	v_fma_f64 v[18:19], v[72:73], v[18:19], -v[54:55]
	v_fma_f64 v[26:27], v[82:83], v[26:27], -v[58:59]
	v_add_co_ci_u32_e64 v33, s0, s5, v45, s0
	v_mul_f64 v[0:1], v[12:13], s[2:3]
	v_mul_f64 v[2:3], v[14:15], s[2:3]
	v_fma_f64 v[24:25], v[82:83], v[24:25], v[56:57]
	v_fma_f64 v[20:21], v[68:69], v[20:21], v[46:47]
	v_fma_f64 v[22:23], v[68:69], v[22:23], -v[48:49]
	global_store_dwordx4 v[32:33], v[4:7], off
	v_mul_f64 v[8:9], v[8:9], s[2:3]
	v_mul_f64 v[10:11], v[10:11], s[2:3]
	;; [unrolled: 1-line block ×8, first 2 shown]
	s_waitcnt vmcnt(4) lgkmcnt(1)
	v_mul_f64 v[60:61], v[80:81], v[30:31]
	v_mul_f64 v[62:63], v[80:81], v[28:29]
	s_waitcnt vmcnt(0) lgkmcnt(0)
	v_mul_f64 v[64:65], v[86:87], v[38:39]
	v_mul_f64 v[66:67], v[86:87], v[36:37]
	v_fma_f64 v[28:29], v[78:79], v[28:29], v[60:61]
	v_fma_f64 v[30:31], v[78:79], v[30:31], -v[62:63]
	v_fma_f64 v[34:35], v[84:85], v[36:37], v[64:65]
	v_fma_f64 v[36:37], v[84:85], v[38:39], -v[66:67]
	v_add_co_u32 v38, s0, v32, s4
	v_add_co_ci_u32_e64 v39, s0, s5, v33, s0
	v_add_co_u32 v40, s0, v38, s4
	v_add_co_ci_u32_e64 v41, s0, s5, v39, s0
	v_mul_f64 v[24:25], v[28:29], s[2:3]
	v_add_co_u32 v42, s0, v40, s4
	v_add_co_ci_u32_e64 v43, s0, s5, v41, s0
	v_mul_f64 v[26:27], v[30:31], s[2:3]
	global_store_dwordx4 v[38:39], v[0:3], off
	global_store_dwordx4 v[40:41], v[8:11], off
	v_mul_f64 v[28:29], v[34:35], s[2:3]
	v_add_co_u32 v34, s0, v42, s4
	v_add_co_ci_u32_e64 v35, s0, s5, v43, s0
	v_mul_f64 v[30:31], v[36:37], s[2:3]
	v_add_co_u32 v4, s0, v34, s4
	v_add_co_ci_u32_e64 v5, s0, s5, v35, s0
	v_add_co_u32 v2, s0, v4, s4
	v_add_co_ci_u32_e64 v3, s0, s5, v5, s0
	;; [unrolled: 2-line block ×3, first 2 shown]
	global_store_dwordx4 v[42:43], v[12:15], off
	global_store_dwordx4 v[34:35], v[16:19], off
	;; [unrolled: 1-line block ×5, first 2 shown]
	s_and_b32 exec_lo, exec_lo, vcc_lo
	s_cbranch_execz .LBB0_23
; %bb.22:
	global_load_dwordx4 v[2:5], v[136:137], off offset:624
	ds_read_b128 v[6:9], v143 offset:624
	ds_read_b128 v[10:13], v143 offset:1824
	s_mul_i32 s0, s9, 0xffffca30
	s_sub_i32 s0, s0, s8
	s_waitcnt vmcnt(0) lgkmcnt(1)
	v_mul_f64 v[14:15], v[8:9], v[4:5]
	v_mul_f64 v[4:5], v[6:7], v[4:5]
	v_fma_f64 v[6:7], v[6:7], v[2:3], v[14:15]
	v_fma_f64 v[4:5], v[2:3], v[8:9], -v[4:5]
	v_mul_f64 v[2:3], v[6:7], s[2:3]
	v_mul_f64 v[4:5], v[4:5], s[2:3]
	v_mad_u64_u32 v[6:7], null, 0xffffca30, s8, v[0:1]
	v_add_nc_u32_e32 v7, s0, v7
	global_store_dwordx4 v[6:7], v[2:5], off
	global_load_dwordx4 v[0:3], v[136:137], off offset:1824
	s_waitcnt vmcnt(0) lgkmcnt(0)
	v_mul_f64 v[4:5], v[12:13], v[2:3]
	v_mul_f64 v[2:3], v[10:11], v[2:3]
	v_fma_f64 v[4:5], v[10:11], v[0:1], v[4:5]
	v_fma_f64 v[2:3], v[0:1], v[12:13], -v[2:3]
	v_add_co_u32 v12, vcc_lo, v6, s4
	v_add_co_ci_u32_e32 v13, vcc_lo, s5, v7, vcc_lo
	v_mul_f64 v[0:1], v[4:5], s[2:3]
	v_mul_f64 v[2:3], v[2:3], s[2:3]
	global_store_dwordx4 v[12:13], v[0:3], off
	s_clause 0x1
	buffer_load_dword v0, off, s[48:51], 0 offset:68
	buffer_load_dword v1, off, s[48:51], 0 offset:72
	s_waitcnt vmcnt(0)
	global_load_dwordx4 v[0:3], v[0:1], off offset:976
	ds_read_b128 v[4:7], v143 offset:3024
	ds_read_b128 v[8:11], v143 offset:4224
	s_waitcnt vmcnt(0) lgkmcnt(1)
	v_mul_f64 v[14:15], v[6:7], v[2:3]
	v_mul_f64 v[2:3], v[4:5], v[2:3]
	v_fma_f64 v[4:5], v[4:5], v[0:1], v[14:15]
	v_fma_f64 v[2:3], v[0:1], v[6:7], -v[2:3]
	v_mul_f64 v[0:1], v[4:5], s[2:3]
	v_mul_f64 v[2:3], v[2:3], s[2:3]
	v_add_co_u32 v4, vcc_lo, v12, s4
	v_add_co_ci_u32_e32 v5, vcc_lo, s5, v13, vcc_lo
	v_add_co_u32 v12, vcc_lo, v4, s4
	v_add_co_ci_u32_e32 v13, vcc_lo, s5, v5, vcc_lo
	global_store_dwordx4 v[4:5], v[0:3], off
	s_clause 0x1
	buffer_load_dword v14, off, s[48:51], 0 offset:60
	buffer_load_dword v15, off, s[48:51], 0 offset:64
	s_waitcnt vmcnt(0)
	global_load_dwordx4 v[0:3], v[14:15], off offset:128
	s_waitcnt vmcnt(0) lgkmcnt(0)
	v_mul_f64 v[6:7], v[10:11], v[2:3]
	v_mul_f64 v[2:3], v[8:9], v[2:3]
	v_fma_f64 v[6:7], v[8:9], v[0:1], v[6:7]
	v_fma_f64 v[2:3], v[0:1], v[10:11], -v[2:3]
	v_mul_f64 v[0:1], v[6:7], s[2:3]
	v_mul_f64 v[2:3], v[2:3], s[2:3]
	global_store_dwordx4 v[12:13], v[0:3], off
	global_load_dwordx4 v[0:3], v[14:15], off offset:1328
	ds_read_b128 v[4:7], v143 offset:5424
	ds_read_b128 v[8:11], v143 offset:6624
	s_waitcnt vmcnt(0) lgkmcnt(1)
	v_mul_f64 v[14:15], v[6:7], v[2:3]
	v_mul_f64 v[2:3], v[4:5], v[2:3]
	v_fma_f64 v[4:5], v[4:5], v[0:1], v[14:15]
	v_fma_f64 v[2:3], v[0:1], v[6:7], -v[2:3]
	v_mul_f64 v[0:1], v[4:5], s[2:3]
	v_mul_f64 v[2:3], v[2:3], s[2:3]
	v_add_co_u32 v4, vcc_lo, v12, s4
	v_add_co_ci_u32_e32 v5, vcc_lo, s5, v13, vcc_lo
	v_add_co_u32 v12, vcc_lo, v4, s4
	v_add_co_ci_u32_e32 v13, vcc_lo, s5, v5, vcc_lo
	global_store_dwordx4 v[4:5], v[0:3], off
	s_clause 0x1
	buffer_load_dword v14, off, s[48:51], 0 offset:52
	buffer_load_dword v15, off, s[48:51], 0 offset:56
	s_waitcnt vmcnt(0)
	global_load_dwordx4 v[0:3], v[14:15], off offset:480
	s_waitcnt vmcnt(0) lgkmcnt(0)
	v_mul_f64 v[6:7], v[10:11], v[2:3]
	v_mul_f64 v[2:3], v[8:9], v[2:3]
	v_fma_f64 v[6:7], v[8:9], v[0:1], v[6:7]
	v_fma_f64 v[2:3], v[0:1], v[10:11], -v[2:3]
	v_mul_f64 v[0:1], v[6:7], s[2:3]
	v_mul_f64 v[2:3], v[2:3], s[2:3]
	global_store_dwordx4 v[12:13], v[0:3], off
	;; [unrolled: 28-line block ×4, first 2 shown]
	s_clause 0x1
	buffer_load_dword v16, off, s[48:51], 0 offset:36
	buffer_load_dword v17, off, s[48:51], 0 offset:40
	s_waitcnt vmcnt(0)
	global_load_dwordx4 v[0:3], v[16:17], off offset:336
	ds_read_b128 v[4:7], v143 offset:12624
	ds_read_b128 v[8:11], v143 offset:13824
	s_waitcnt vmcnt(0) lgkmcnt(1)
	v_mul_f64 v[14:15], v[6:7], v[2:3]
	v_mul_f64 v[2:3], v[4:5], v[2:3]
	v_fma_f64 v[4:5], v[4:5], v[0:1], v[14:15]
	v_fma_f64 v[2:3], v[0:1], v[6:7], -v[2:3]
	v_mul_f64 v[0:1], v[4:5], s[2:3]
	v_mul_f64 v[2:3], v[2:3], s[2:3]
	v_add_co_u32 v4, vcc_lo, v12, s4
	v_add_co_ci_u32_e32 v5, vcc_lo, s5, v13, vcc_lo
	global_store_dwordx4 v[4:5], v[0:3], off
	global_load_dwordx4 v[0:3], v[16:17], off offset:1536
	s_waitcnt vmcnt(0) lgkmcnt(0)
	v_mul_f64 v[6:7], v[10:11], v[2:3]
	v_mul_f64 v[2:3], v[8:9], v[2:3]
	v_fma_f64 v[6:7], v[8:9], v[0:1], v[6:7]
	v_fma_f64 v[2:3], v[0:1], v[10:11], -v[2:3]
	v_add_co_u32 v8, vcc_lo, v4, s4
	v_add_co_ci_u32_e32 v9, vcc_lo, s5, v5, vcc_lo
	v_mul_f64 v[0:1], v[6:7], s[2:3]
	v_mul_f64 v[2:3], v[2:3], s[2:3]
	global_store_dwordx4 v[8:9], v[0:3], off
	s_clause 0x1
	buffer_load_dword v0, off, s[48:51], 0
	buffer_load_dword v1, off, s[48:51], 0 offset:4
	ds_read_b128 v[4:7], v143 offset:15024
	s_waitcnt vmcnt(0)
	global_load_dwordx4 v[0:3], v[0:1], off offset:688
	s_waitcnt vmcnt(0) lgkmcnt(0)
	v_mul_f64 v[10:11], v[6:7], v[2:3]
	v_mul_f64 v[2:3], v[4:5], v[2:3]
	v_fma_f64 v[4:5], v[4:5], v[0:1], v[10:11]
	v_fma_f64 v[2:3], v[0:1], v[6:7], -v[2:3]
	v_mul_f64 v[0:1], v[4:5], s[2:3]
	v_mul_f64 v[2:3], v[2:3], s[2:3]
	v_add_co_u32 v4, vcc_lo, v8, s4
	v_add_co_ci_u32_e32 v5, vcc_lo, s5, v9, vcc_lo
	global_store_dwordx4 v[4:5], v[0:3], off
.LBB0_23:
	s_endpgm
	.section	.rodata,"a",@progbits
	.p2align	6, 0x0
	.amdhsa_kernel bluestein_single_back_len975_dim1_dp_op_CI_CI
		.amdhsa_group_segment_fixed_size 46800
		.amdhsa_private_segment_fixed_size 940
		.amdhsa_kernarg_size 104
		.amdhsa_user_sgpr_count 6
		.amdhsa_user_sgpr_private_segment_buffer 1
		.amdhsa_user_sgpr_dispatch_ptr 0
		.amdhsa_user_sgpr_queue_ptr 0
		.amdhsa_user_sgpr_kernarg_segment_ptr 1
		.amdhsa_user_sgpr_dispatch_id 0
		.amdhsa_user_sgpr_flat_scratch_init 0
		.amdhsa_user_sgpr_private_segment_size 0
		.amdhsa_wavefront_size32 1
		.amdhsa_uses_dynamic_stack 0
		.amdhsa_system_sgpr_private_segment_wavefront_offset 1
		.amdhsa_system_sgpr_workgroup_id_x 1
		.amdhsa_system_sgpr_workgroup_id_y 0
		.amdhsa_system_sgpr_workgroup_id_z 0
		.amdhsa_system_sgpr_workgroup_info 0
		.amdhsa_system_vgpr_workitem_id 0
		.amdhsa_next_free_vgpr 256
		.amdhsa_next_free_sgpr 52
		.amdhsa_reserve_vcc 1
		.amdhsa_reserve_flat_scratch 0
		.amdhsa_float_round_mode_32 0
		.amdhsa_float_round_mode_16_64 0
		.amdhsa_float_denorm_mode_32 3
		.amdhsa_float_denorm_mode_16_64 3
		.amdhsa_dx10_clamp 1
		.amdhsa_ieee_mode 1
		.amdhsa_fp16_overflow 0
		.amdhsa_workgroup_processor_mode 1
		.amdhsa_memory_ordered 1
		.amdhsa_forward_progress 0
		.amdhsa_shared_vgpr_count 0
		.amdhsa_exception_fp_ieee_invalid_op 0
		.amdhsa_exception_fp_denorm_src 0
		.amdhsa_exception_fp_ieee_div_zero 0
		.amdhsa_exception_fp_ieee_overflow 0
		.amdhsa_exception_fp_ieee_underflow 0
		.amdhsa_exception_fp_ieee_inexact 0
		.amdhsa_exception_int_div_zero 0
	.end_amdhsa_kernel
	.text
.Lfunc_end0:
	.size	bluestein_single_back_len975_dim1_dp_op_CI_CI, .Lfunc_end0-bluestein_single_back_len975_dim1_dp_op_CI_CI
                                        ; -- End function
	.section	.AMDGPU.csdata,"",@progbits
; Kernel info:
; codeLenInByte = 45932
; NumSgprs: 54
; NumVgprs: 256
; ScratchSize: 940
; MemoryBound: 0
; FloatMode: 240
; IeeeMode: 1
; LDSByteSize: 46800 bytes/workgroup (compile time only)
; SGPRBlocks: 6
; VGPRBlocks: 31
; NumSGPRsForWavesPerEU: 54
; NumVGPRsForWavesPerEU: 256
; Occupancy: 2
; WaveLimiterHint : 1
; COMPUTE_PGM_RSRC2:SCRATCH_EN: 1
; COMPUTE_PGM_RSRC2:USER_SGPR: 6
; COMPUTE_PGM_RSRC2:TRAP_HANDLER: 0
; COMPUTE_PGM_RSRC2:TGID_X_EN: 1
; COMPUTE_PGM_RSRC2:TGID_Y_EN: 0
; COMPUTE_PGM_RSRC2:TGID_Z_EN: 0
; COMPUTE_PGM_RSRC2:TIDIG_COMP_CNT: 0
	.text
	.p2alignl 6, 3214868480
	.fill 48, 4, 3214868480
	.type	__hip_cuid_f9dd32731c7ba2a1,@object ; @__hip_cuid_f9dd32731c7ba2a1
	.section	.bss,"aw",@nobits
	.globl	__hip_cuid_f9dd32731c7ba2a1
__hip_cuid_f9dd32731c7ba2a1:
	.byte	0                               ; 0x0
	.size	__hip_cuid_f9dd32731c7ba2a1, 1

	.ident	"AMD clang version 19.0.0git (https://github.com/RadeonOpenCompute/llvm-project roc-6.4.0 25133 c7fe45cf4b819c5991fe208aaa96edf142730f1d)"
	.section	".note.GNU-stack","",@progbits
	.addrsig
	.addrsig_sym __hip_cuid_f9dd32731c7ba2a1
	.amdgpu_metadata
---
amdhsa.kernels:
  - .args:
      - .actual_access:  read_only
        .address_space:  global
        .offset:         0
        .size:           8
        .value_kind:     global_buffer
      - .actual_access:  read_only
        .address_space:  global
        .offset:         8
        .size:           8
        .value_kind:     global_buffer
      - .actual_access:  read_only
        .address_space:  global
        .offset:         16
        .size:           8
        .value_kind:     global_buffer
      - .actual_access:  read_only
        .address_space:  global
        .offset:         24
        .size:           8
        .value_kind:     global_buffer
      - .actual_access:  read_only
        .address_space:  global
        .offset:         32
        .size:           8
        .value_kind:     global_buffer
      - .offset:         40
        .size:           8
        .value_kind:     by_value
      - .address_space:  global
        .offset:         48
        .size:           8
        .value_kind:     global_buffer
      - .address_space:  global
        .offset:         56
        .size:           8
        .value_kind:     global_buffer
      - .address_space:  global
        .offset:         64
        .size:           8
        .value_kind:     global_buffer
      - .address_space:  global
        .offset:         72
        .size:           8
        .value_kind:     global_buffer
      - .offset:         80
        .size:           4
        .value_kind:     by_value
      - .address_space:  global
        .offset:         88
        .size:           8
        .value_kind:     global_buffer
      - .address_space:  global
        .offset:         96
        .size:           8
        .value_kind:     global_buffer
    .group_segment_fixed_size: 46800
    .kernarg_segment_align: 8
    .kernarg_segment_size: 104
    .language:       OpenCL C
    .language_version:
      - 2
      - 0
    .max_flat_workgroup_size: 117
    .name:           bluestein_single_back_len975_dim1_dp_op_CI_CI
    .private_segment_fixed_size: 940
    .sgpr_count:     54
    .sgpr_spill_count: 0
    .symbol:         bluestein_single_back_len975_dim1_dp_op_CI_CI.kd
    .uniform_work_group_size: 1
    .uses_dynamic_stack: false
    .vgpr_count:     256
    .vgpr_spill_count: 238
    .wavefront_size: 32
    .workgroup_processor_mode: 1
amdhsa.target:   amdgcn-amd-amdhsa--gfx1030
amdhsa.version:
  - 1
  - 2
...

	.end_amdgpu_metadata
